;; amdgpu-corpus repo=ROCm/hip-tests kind=compiled arch=gfx1030 opt=O3
	.amdgcn_target "amdgcn-amd-amdhsa--gfx1030"
	.amdhsa_code_object_version 6
	.text
	.protected	_Z33kernel_cg_group_partition_dynamicjPibS_ ; -- Begin function _Z33kernel_cg_group_partition_dynamicjPibS_
	.globl	_Z33kernel_cg_group_partition_dynamicjPibS_
	.p2align	8
	.type	_Z33kernel_cg_group_partition_dynamicjPibS_,@function
_Z33kernel_cg_group_partition_dynamicjPibS_: ; @_Z33kernel_cg_group_partition_dynamicjPibS_
; %bb.0:
	s_mov_b64 s[0:1], src_shared_base
	s_clause 0x2
	s_load_dword s0, s[4:5], 0x10
	s_load_dwordx2 s[6:7], s[4:5], 0x2c
	s_load_dwordx2 s[8:9], s[4:5], 0x18
	s_waitcnt lgkmcnt(0)
	s_and_b32 s0, 1, s0
	s_add_u32 s2, s4, 32
	s_addc_u32 s3, s5, 0
	s_lshr_b32 s10, s6, 16
	s_and_b32 s6, s6, 0xffff
	v_mad_u32_u24 v1, v2, s10, v1
	s_and_b32 s7, s7, 0xffff
	s_cmp_lg_u32 0, -1
	s_mul_i32 s23, s10, s6
	s_cselect_b32 s11, 0, 0
	v_mad_u64_u32 v[2:3], null, v1, s6, v[0:1]
	s_cselect_b32 s1, s1, 0
	s_cmp_eq_u32 s0, 1
	s_mul_i32 s23, s23, s7
	s_cselect_b32 s21, s9, s1
	s_cselect_b32 s22, s8, s11
	s_cmp_lt_u32 s23, 2
	v_mov_b32_e32 v32, v2
	v_mov_b32_e32 v31, v2
	s_mov_b32 s1, 0
	s_cbranch_scc1 .LBB0_6
; %bb.1:
	v_ashrrev_i32_e32 v3, 31, v2
	v_mov_b32_e32 v31, v32
	s_mov_b32 s6, s23
	v_lshlrev_b64 v[0:1], 2, v[2:3]
	v_add_co_u32 v0, vcc_lo, s22, v0
	v_add_co_ci_u32_e64 v1, null, s21, v1, vcc_lo
	.p2align	6
.LBB0_2:                                ; =>This Inner Loop Header: Depth=1
	s_lshr_b32 s0, s6, 1
	s_mov_b32 s7, exec_lo
	flat_store_dword v[0:1], v31
	s_waitcnt lgkmcnt(0)
	s_waitcnt_vscnt null, 0x0
	s_barrier
	buffer_gl0_inv
	v_cmpx_gt_i32_e64 s0, v2
	s_cbranch_execz .LBB0_4
; %bb.3:                                ;   in Loop: Header=BB0_2 Depth=1
	s_lshl_b64 s[8:9], s[0:1], 2
	v_add_co_u32 v3, vcc_lo, v0, s8
	v_add_co_ci_u32_e64 v4, null, s9, v1, vcc_lo
	flat_load_dword v3, v[3:4]
	s_waitcnt vmcnt(0) lgkmcnt(0)
	v_add_nc_u32_e32 v31, v3, v31
.LBB0_4:                                ;   in Loop: Header=BB0_2 Depth=1
	s_or_b32 exec_lo, exec_lo, s7
	s_cmp_gt_u32 s6, 3
	s_barrier
	buffer_gl0_inv
	s_cbranch_scc0 .LBB0_6
; %bb.5:                                ;   in Loop: Header=BB0_2 Depth=1
	s_mov_b32 s6, s0
	s_branch .LBB0_2
.LBB0_6:
	s_load_dword s20, s[4:5], 0x0
	v_cmp_eq_u32_e64 s0, 0, v2
	s_and_saveexec_b32 s24, s0
	s_cbranch_execz .LBB0_376
; %bb.7:
	s_load_dwordx2 s[6:7], s[2:3], 0x50
	v_mbcnt_lo_u32_b32 v30, -1, 0
	v_mov_b32_e32 v0, 0
	v_mov_b32_e32 v1, 0
	v_readfirstlane_b32 s1, v30
	v_cmp_eq_u32_e64 s1, s1, v30
	s_and_saveexec_b32 s8, s1
	s_cbranch_execz .LBB0_13
; %bb.8:
	v_mov_b32_e32 v3, 0
	s_mov_b32 s9, exec_lo
	s_waitcnt lgkmcnt(0)
	global_load_dwordx2 v[6:7], v3, s[6:7] offset:24 glc dlc
	s_waitcnt vmcnt(0)
	buffer_gl1_inv
	buffer_gl0_inv
	s_clause 0x1
	global_load_dwordx2 v[0:1], v3, s[6:7] offset:40
	global_load_dwordx2 v[4:5], v3, s[6:7]
	s_waitcnt vmcnt(1)
	v_and_b32_e32 v1, v1, v7
	v_and_b32_e32 v0, v0, v6
	v_mul_lo_u32 v1, v1, 24
	v_mul_hi_u32 v8, v0, 24
	v_mul_lo_u32 v0, v0, 24
	v_add_nc_u32_e32 v1, v8, v1
	s_waitcnt vmcnt(0)
	v_add_co_u32 v0, vcc_lo, v4, v0
	v_add_co_ci_u32_e64 v1, null, v5, v1, vcc_lo
	global_load_dwordx2 v[4:5], v[0:1], off glc dlc
	s_waitcnt vmcnt(0)
	global_atomic_cmpswap_x2 v[0:1], v3, v[4:7], s[6:7] offset:24 glc
	s_waitcnt vmcnt(0)
	buffer_gl1_inv
	buffer_gl0_inv
	v_cmpx_ne_u64_e64 v[0:1], v[6:7]
	s_cbranch_execz .LBB0_12
; %bb.9:
	s_mov_b32 s10, 0
	.p2align	6
.LBB0_10:                               ; =>This Inner Loop Header: Depth=1
	s_sleep 1
	s_clause 0x1
	global_load_dwordx2 v[4:5], v3, s[6:7] offset:40
	global_load_dwordx2 v[8:9], v3, s[6:7]
	v_mov_b32_e32 v7, v1
	v_mov_b32_e32 v6, v0
	s_waitcnt vmcnt(1)
	v_and_b32_e32 v0, v4, v6
	v_and_b32_e32 v4, v5, v7
	s_waitcnt vmcnt(0)
	v_mad_u64_u32 v[0:1], null, v0, 24, v[8:9]
	v_mad_u64_u32 v[4:5], null, v4, 24, v[1:2]
	v_mov_b32_e32 v1, v4
	global_load_dwordx2 v[4:5], v[0:1], off glc dlc
	s_waitcnt vmcnt(0)
	global_atomic_cmpswap_x2 v[0:1], v3, v[4:7], s[6:7] offset:24 glc
	s_waitcnt vmcnt(0)
	buffer_gl1_inv
	buffer_gl0_inv
	v_cmp_eq_u64_e32 vcc_lo, v[0:1], v[6:7]
	s_or_b32 s10, vcc_lo, s10
	s_andn2_b32 exec_lo, exec_lo, s10
	s_cbranch_execnz .LBB0_10
; %bb.11:
	s_or_b32 exec_lo, exec_lo, s10
.LBB0_12:
	s_or_b32 exec_lo, exec_lo, s9
.LBB0_13:
	s_or_b32 exec_lo, exec_lo, s8
	v_mov_b32_e32 v8, 0
	v_readfirstlane_b32 s9, v1
	v_readfirstlane_b32 s8, v0
	s_mov_b32 s12, exec_lo
	s_waitcnt lgkmcnt(0)
	s_clause 0x1
	global_load_dwordx2 v[9:10], v8, s[6:7] offset:40
	global_load_dwordx4 v[3:6], v8, s[6:7]
	s_waitcnt vmcnt(1)
	v_readfirstlane_b32 s10, v9
	v_readfirstlane_b32 s11, v10
	s_and_b64 s[10:11], s[10:11], s[8:9]
	s_mul_i32 s13, s11, 24
	s_mul_hi_u32 s14, s10, 24
	s_mul_i32 s15, s10, 24
	s_add_i32 s14, s14, s13
	s_waitcnt vmcnt(0)
	v_add_co_u32 v0, vcc_lo, v3, s15
	v_add_co_ci_u32_e64 v1, null, s14, v4, vcc_lo
	s_and_saveexec_b32 s13, s1
	s_cbranch_execz .LBB0_15
; %bb.14:
	v_mov_b32_e32 v7, s12
	v_mov_b32_e32 v9, 2
	;; [unrolled: 1-line block ×3, first 2 shown]
	global_store_dwordx4 v[0:1], v[7:10], off offset:8
.LBB0_15:
	s_or_b32 exec_lo, exec_lo, s13
	s_lshl_b64 s[10:11], s[10:11], 12
	v_lshlrev_b32_e32 v29, 6, v30
	v_add_co_u32 v5, vcc_lo, v5, s10
	v_add_co_ci_u32_e64 v6, null, s11, v6, vcc_lo
	s_mov_b32 s12, 0
	v_add_co_u32 v11, vcc_lo, v5, v29
	s_mov_b32 s15, s12
	s_mov_b32 s13, s12
	;; [unrolled: 1-line block ×3, first 2 shown]
	v_mov_b32_e32 v7, 33
	v_mov_b32_e32 v9, v8
	;; [unrolled: 1-line block ×3, first 2 shown]
	v_readfirstlane_b32 s10, v5
	v_readfirstlane_b32 s11, v6
	v_mov_b32_e32 v16, s15
	v_add_co_ci_u32_e64 v12, null, 0, v6, vcc_lo
	v_mov_b32_e32 v15, s14
	v_mov_b32_e32 v14, s13
	;; [unrolled: 1-line block ×3, first 2 shown]
	global_store_dwordx4 v29, v[7:10], s[10:11]
	global_store_dwordx4 v29, v[13:16], s[10:11] offset:16
	global_store_dwordx4 v29, v[13:16], s[10:11] offset:32
	;; [unrolled: 1-line block ×3, first 2 shown]
	s_and_saveexec_b32 s10, s1
	s_cbranch_execz .LBB0_22
; %bb.16:
	v_mov_b32_e32 v9, 0
	v_mov_b32_e32 v13, s8
	;; [unrolled: 1-line block ×3, first 2 shown]
	s_mov_b32 s11, exec_lo
	s_clause 0x1
	global_load_dwordx2 v[15:16], v9, s[6:7] offset:32 glc dlc
	global_load_dwordx2 v[5:6], v9, s[6:7] offset:40
	s_waitcnt vmcnt(0)
	v_and_b32_e32 v6, s9, v6
	v_and_b32_e32 v5, s8, v5
	v_mul_lo_u32 v6, v6, 24
	v_mul_hi_u32 v7, v5, 24
	v_mul_lo_u32 v5, v5, 24
	v_add_nc_u32_e32 v6, v7, v6
	v_add_co_u32 v7, vcc_lo, v3, v5
	v_add_co_ci_u32_e64 v8, null, v4, v6, vcc_lo
	global_store_dwordx2 v[7:8], v[15:16], off
	s_waitcnt_vscnt null, 0x0
	global_atomic_cmpswap_x2 v[5:6], v9, v[13:16], s[6:7] offset:32 glc
	s_waitcnt vmcnt(0)
	v_cmpx_ne_u64_e64 v[5:6], v[15:16]
	s_cbranch_execz .LBB0_18
.LBB0_17:                               ; =>This Inner Loop Header: Depth=1
	v_mov_b32_e32 v3, s8
	v_mov_b32_e32 v4, s9
	s_sleep 1
	global_store_dwordx2 v[7:8], v[5:6], off
	s_waitcnt_vscnt null, 0x0
	global_atomic_cmpswap_x2 v[3:4], v9, v[3:6], s[6:7] offset:32 glc
	s_waitcnt vmcnt(0)
	v_cmp_eq_u64_e32 vcc_lo, v[3:4], v[5:6]
	v_mov_b32_e32 v6, v4
	v_mov_b32_e32 v5, v3
	s_or_b32 s12, vcc_lo, s12
	s_andn2_b32 exec_lo, exec_lo, s12
	s_cbranch_execnz .LBB0_17
.LBB0_18:
	s_or_b32 exec_lo, exec_lo, s11
	v_mov_b32_e32 v6, 0
	s_mov_b32 s12, exec_lo
	s_mov_b32 s11, exec_lo
	v_mbcnt_lo_u32_b32 v5, s12, 0
	global_load_dwordx2 v[3:4], v6, s[6:7] offset:16
	v_cmpx_eq_u32_e32 0, v5
	s_cbranch_execz .LBB0_20
; %bb.19:
	s_bcnt1_i32_b32 s12, s12
	v_mov_b32_e32 v5, s12
	s_waitcnt vmcnt(0)
	global_atomic_add_x2 v[3:4], v[5:6], off offset:8
.LBB0_20:
	s_or_b32 exec_lo, exec_lo, s11
	s_waitcnt vmcnt(0)
	global_load_dwordx2 v[5:6], v[3:4], off offset:16
	s_waitcnt vmcnt(0)
	v_cmp_eq_u64_e32 vcc_lo, 0, v[5:6]
	s_cbranch_vccnz .LBB0_22
; %bb.21:
	global_load_dword v3, v[3:4], off offset:24
	v_mov_b32_e32 v4, 0
	s_waitcnt vmcnt(0)
	v_readfirstlane_b32 s11, v3
	s_waitcnt_vscnt null, 0x0
	global_store_dwordx2 v[5:6], v[3:4], off
	s_and_b32 m0, s11, 0x7fffff
	s_sendmsg sendmsg(MSG_INTERRUPT)
.LBB0_22:
	s_or_b32 exec_lo, exec_lo, s10
	s_branch .LBB0_26
	.p2align	6
.LBB0_23:                               ;   in Loop: Header=BB0_26 Depth=1
	s_or_b32 exec_lo, exec_lo, s10
	v_readfirstlane_b32 s10, v3
	s_cmp_eq_u32 s10, 0
	s_cbranch_scc1 .LBB0_25
; %bb.24:                               ;   in Loop: Header=BB0_26 Depth=1
	s_sleep 1
	s_cbranch_execnz .LBB0_26
	s_branch .LBB0_28
	.p2align	6
.LBB0_25:
	s_branch .LBB0_28
.LBB0_26:                               ; =>This Inner Loop Header: Depth=1
	v_mov_b32_e32 v3, 1
	s_and_saveexec_b32 s10, s1
	s_cbranch_execz .LBB0_23
; %bb.27:                               ;   in Loop: Header=BB0_26 Depth=1
	global_load_dword v3, v[0:1], off offset:20 glc dlc
	s_waitcnt vmcnt(0)
	buffer_gl1_inv
	buffer_gl0_inv
	v_and_b32_e32 v3, 1, v3
	s_branch .LBB0_23
.LBB0_28:
	global_load_dwordx2 v[3:4], v[11:12], off
	s_and_saveexec_b32 s10, s1
	s_cbranch_execz .LBB0_32
; %bb.29:
	v_mov_b32_e32 v9, 0
	s_clause 0x2
	global_load_dwordx2 v[0:1], v9, s[6:7] offset:40
	global_load_dwordx2 v[12:13], v9, s[6:7] offset:24 glc dlc
	global_load_dwordx2 v[5:6], v9, s[6:7]
	s_waitcnt vmcnt(2)
	v_readfirstlane_b32 s12, v0
	v_readfirstlane_b32 s13, v1
	s_add_u32 s1, s12, 1
	s_addc_u32 s11, s13, 0
	s_add_u32 s8, s1, s8
	s_addc_u32 s9, s11, s9
	s_cmp_eq_u64 s[8:9], 0
	s_cselect_b32 s9, s11, s9
	s_cselect_b32 s8, s1, s8
	v_mov_b32_e32 v11, s9
	s_and_b64 s[12:13], s[8:9], s[12:13]
	v_mov_b32_e32 v10, s8
	s_mul_i32 s1, s13, 24
	s_mul_hi_u32 s11, s12, 24
	s_mul_i32 s12, s12, 24
	s_add_i32 s11, s11, s1
	s_waitcnt vmcnt(0)
	v_add_co_u32 v0, vcc_lo, v5, s12
	v_add_co_ci_u32_e64 v1, null, s11, v6, vcc_lo
	global_store_dwordx2 v[0:1], v[12:13], off
	s_waitcnt_vscnt null, 0x0
	global_atomic_cmpswap_x2 v[7:8], v9, v[10:13], s[6:7] offset:24 glc
	s_waitcnt vmcnt(0)
	v_cmp_ne_u64_e32 vcc_lo, v[7:8], v[12:13]
	s_and_b32 exec_lo, exec_lo, vcc_lo
	s_cbranch_execz .LBB0_32
; %bb.30:
	s_mov_b32 s1, 0
.LBB0_31:                               ; =>This Inner Loop Header: Depth=1
	v_mov_b32_e32 v5, s8
	v_mov_b32_e32 v6, s9
	s_sleep 1
	global_store_dwordx2 v[0:1], v[7:8], off
	s_waitcnt_vscnt null, 0x0
	global_atomic_cmpswap_x2 v[5:6], v9, v[5:8], s[6:7] offset:24 glc
	s_waitcnt vmcnt(0)
	v_cmp_eq_u64_e32 vcc_lo, v[5:6], v[7:8]
	v_mov_b32_e32 v8, v6
	v_mov_b32_e32 v7, v5
	s_or_b32 s1, vcc_lo, s1
	s_andn2_b32 exec_lo, exec_lo, s1
	s_cbranch_execnz .LBB0_31
.LBB0_32:
	s_or_b32 exec_lo, exec_lo, s10
	s_getpc_b64 s[8:9]
	s_add_u32 s8, s8, .str@rel32@lo+4
	s_addc_u32 s9, s9, .str@rel32@hi+12
	s_cmp_lg_u64 s[8:9], 0
	s_cbranch_scc0 .LBB0_111
; %bb.33:
	s_waitcnt vmcnt(0)
	v_and_b32_e32 v33, 2, v3
	v_mov_b32_e32 v10, 0
	v_and_b32_e32 v5, -3, v3
	v_mov_b32_e32 v6, v4
	v_mov_b32_e32 v11, 2
	;; [unrolled: 1-line block ×3, first 2 shown]
	s_mov_b64 s[10:11], 0x42
	s_branch .LBB0_35
.LBB0_34:                               ;   in Loop: Header=BB0_35 Depth=1
	s_or_b32 exec_lo, exec_lo, s16
	s_sub_u32 s10, s10, s12
	s_subb_u32 s11, s11, s13
	s_add_u32 s8, s8, s12
	s_addc_u32 s9, s9, s13
	s_cmp_lg_u64 s[10:11], 0
	s_cbranch_scc0 .LBB0_110
.LBB0_35:                               ; =>This Loop Header: Depth=1
                                        ;     Child Loop BB0_38 Depth 2
                                        ;     Child Loop BB0_45 Depth 2
	;; [unrolled: 1-line block ×11, first 2 shown]
	v_cmp_lt_u64_e64 s1, s[10:11], 56
	v_cmp_gt_u64_e64 s16, s[10:11], 7
	s_and_b32 s1, s1, exec_lo
	s_cselect_b32 s13, s11, 0
	s_cselect_b32 s12, s10, 56
	s_add_u32 s14, s8, 8
	s_addc_u32 s15, s9, 0
	s_and_b32 vcc_lo, exec_lo, s16
	s_cbranch_vccnz .LBB0_40
; %bb.36:                               ;   in Loop: Header=BB0_35 Depth=1
	v_mov_b32_e32 v7, 0
	v_mov_b32_e32 v8, 0
	s_cmp_eq_u64 s[10:11], 0
	s_cbranch_scc1 .LBB0_39
; %bb.37:                               ;   in Loop: Header=BB0_35 Depth=1
	s_lshl_b64 s[14:15], s[12:13], 3
	s_mov_b64 s[16:17], 0
	s_mov_b64 s[18:19], s[8:9]
.LBB0_38:                               ;   Parent Loop BB0_35 Depth=1
                                        ; =>  This Inner Loop Header: Depth=2
	global_load_ubyte v0, v10, s[18:19]
	s_waitcnt vmcnt(0)
	v_and_b32_e32 v9, 0xffff, v0
	v_lshlrev_b64 v[0:1], s16, v[9:10]
	s_add_u32 s16, s16, 8
	s_addc_u32 s17, s17, 0
	s_add_u32 s18, s18, 1
	s_addc_u32 s19, s19, 0
	s_cmp_lg_u32 s14, s16
	v_or_b32_e32 v7, v0, v7
	v_or_b32_e32 v8, v1, v8
	s_cbranch_scc1 .LBB0_38
.LBB0_39:                               ;   in Loop: Header=BB0_35 Depth=1
	s_mov_b64 s[14:15], s[8:9]
	s_mov_b32 s1, 0
	s_cbranch_execz .LBB0_41
	s_branch .LBB0_42
.LBB0_40:                               ;   in Loop: Header=BB0_35 Depth=1
	s_mov_b32 s1, 0
.LBB0_41:                               ;   in Loop: Header=BB0_35 Depth=1
	global_load_dwordx2 v[7:8], v10, s[8:9]
	s_add_i32 s1, s12, -8
.LBB0_42:                               ;   in Loop: Header=BB0_35 Depth=1
	s_add_u32 s16, s14, 8
	s_addc_u32 s17, s15, 0
	s_cmp_gt_u32 s1, 7
	s_cbranch_scc1 .LBB0_47
; %bb.43:                               ;   in Loop: Header=BB0_35 Depth=1
	v_mov_b32_e32 v13, 0
	v_mov_b32_e32 v14, 0
	s_cmp_eq_u32 s1, 0
	s_cbranch_scc1 .LBB0_46
; %bb.44:                               ;   in Loop: Header=BB0_35 Depth=1
	s_mov_b64 s[16:17], 0
	s_mov_b64 s[18:19], 0
.LBB0_45:                               ;   Parent Loop BB0_35 Depth=1
                                        ; =>  This Inner Loop Header: Depth=2
	s_add_u32 s26, s14, s18
	s_addc_u32 s27, s15, s19
	s_add_u32 s18, s18, 1
	global_load_ubyte v0, v10, s[26:27]
	s_addc_u32 s19, s19, 0
	s_waitcnt vmcnt(0)
	v_and_b32_e32 v9, 0xffff, v0
	v_lshlrev_b64 v[0:1], s16, v[9:10]
	s_add_u32 s16, s16, 8
	s_addc_u32 s17, s17, 0
	s_cmp_lg_u32 s1, s18
	v_or_b32_e32 v13, v0, v13
	v_or_b32_e32 v14, v1, v14
	s_cbranch_scc1 .LBB0_45
.LBB0_46:                               ;   in Loop: Header=BB0_35 Depth=1
	s_mov_b64 s[16:17], s[14:15]
	s_mov_b32 s25, 0
	s_cbranch_execz .LBB0_48
	s_branch .LBB0_49
.LBB0_47:                               ;   in Loop: Header=BB0_35 Depth=1
                                        ; implicit-def: $vgpr13_vgpr14
	s_mov_b32 s25, 0
.LBB0_48:                               ;   in Loop: Header=BB0_35 Depth=1
	global_load_dwordx2 v[13:14], v10, s[14:15]
	s_add_i32 s25, s1, -8
.LBB0_49:                               ;   in Loop: Header=BB0_35 Depth=1
	s_add_u32 s14, s16, 8
	s_addc_u32 s15, s17, 0
	s_cmp_gt_u32 s25, 7
	s_cbranch_scc1 .LBB0_54
; %bb.50:                               ;   in Loop: Header=BB0_35 Depth=1
	v_mov_b32_e32 v15, 0
	v_mov_b32_e32 v16, 0
	s_cmp_eq_u32 s25, 0
	s_cbranch_scc1 .LBB0_53
; %bb.51:                               ;   in Loop: Header=BB0_35 Depth=1
	s_mov_b64 s[14:15], 0
	s_mov_b64 s[18:19], 0
.LBB0_52:                               ;   Parent Loop BB0_35 Depth=1
                                        ; =>  This Inner Loop Header: Depth=2
	s_add_u32 s26, s16, s18
	s_addc_u32 s27, s17, s19
	s_add_u32 s18, s18, 1
	global_load_ubyte v0, v10, s[26:27]
	s_addc_u32 s19, s19, 0
	s_waitcnt vmcnt(0)
	v_and_b32_e32 v9, 0xffff, v0
	v_lshlrev_b64 v[0:1], s14, v[9:10]
	s_add_u32 s14, s14, 8
	s_addc_u32 s15, s15, 0
	s_cmp_lg_u32 s25, s18
	v_or_b32_e32 v15, v0, v15
	v_or_b32_e32 v16, v1, v16
	s_cbranch_scc1 .LBB0_52
.LBB0_53:                               ;   in Loop: Header=BB0_35 Depth=1
	s_mov_b64 s[14:15], s[16:17]
	s_mov_b32 s1, 0
	s_cbranch_execz .LBB0_55
	s_branch .LBB0_56
.LBB0_54:                               ;   in Loop: Header=BB0_35 Depth=1
	s_mov_b32 s1, 0
.LBB0_55:                               ;   in Loop: Header=BB0_35 Depth=1
	global_load_dwordx2 v[15:16], v10, s[16:17]
	s_add_i32 s1, s25, -8
.LBB0_56:                               ;   in Loop: Header=BB0_35 Depth=1
	s_add_u32 s16, s14, 8
	s_addc_u32 s17, s15, 0
	s_cmp_gt_u32 s1, 7
	s_cbranch_scc1 .LBB0_61
; %bb.57:                               ;   in Loop: Header=BB0_35 Depth=1
	v_mov_b32_e32 v17, 0
	v_mov_b32_e32 v18, 0
	s_cmp_eq_u32 s1, 0
	s_cbranch_scc1 .LBB0_60
; %bb.58:                               ;   in Loop: Header=BB0_35 Depth=1
	s_mov_b64 s[16:17], 0
	s_mov_b64 s[18:19], 0
.LBB0_59:                               ;   Parent Loop BB0_35 Depth=1
                                        ; =>  This Inner Loop Header: Depth=2
	s_add_u32 s26, s14, s18
	s_addc_u32 s27, s15, s19
	s_add_u32 s18, s18, 1
	global_load_ubyte v0, v10, s[26:27]
	s_addc_u32 s19, s19, 0
	s_waitcnt vmcnt(0)
	v_and_b32_e32 v9, 0xffff, v0
	v_lshlrev_b64 v[0:1], s16, v[9:10]
	s_add_u32 s16, s16, 8
	s_addc_u32 s17, s17, 0
	s_cmp_lg_u32 s1, s18
	v_or_b32_e32 v17, v0, v17
	v_or_b32_e32 v18, v1, v18
	s_cbranch_scc1 .LBB0_59
.LBB0_60:                               ;   in Loop: Header=BB0_35 Depth=1
	s_mov_b64 s[16:17], s[14:15]
	s_mov_b32 s25, 0
	s_cbranch_execz .LBB0_62
	s_branch .LBB0_63
.LBB0_61:                               ;   in Loop: Header=BB0_35 Depth=1
                                        ; implicit-def: $vgpr17_vgpr18
	s_mov_b32 s25, 0
.LBB0_62:                               ;   in Loop: Header=BB0_35 Depth=1
	global_load_dwordx2 v[17:18], v10, s[14:15]
	s_add_i32 s25, s1, -8
.LBB0_63:                               ;   in Loop: Header=BB0_35 Depth=1
	s_add_u32 s14, s16, 8
	s_addc_u32 s15, s17, 0
	s_cmp_gt_u32 s25, 7
	s_cbranch_scc1 .LBB0_68
; %bb.64:                               ;   in Loop: Header=BB0_35 Depth=1
	v_mov_b32_e32 v19, 0
	v_mov_b32_e32 v20, 0
	s_cmp_eq_u32 s25, 0
	s_cbranch_scc1 .LBB0_67
; %bb.65:                               ;   in Loop: Header=BB0_35 Depth=1
	s_mov_b64 s[14:15], 0
	s_mov_b64 s[18:19], 0
.LBB0_66:                               ;   Parent Loop BB0_35 Depth=1
                                        ; =>  This Inner Loop Header: Depth=2
	s_add_u32 s26, s16, s18
	s_addc_u32 s27, s17, s19
	s_add_u32 s18, s18, 1
	global_load_ubyte v0, v10, s[26:27]
	s_addc_u32 s19, s19, 0
	s_waitcnt vmcnt(0)
	v_and_b32_e32 v9, 0xffff, v0
	v_lshlrev_b64 v[0:1], s14, v[9:10]
	s_add_u32 s14, s14, 8
	s_addc_u32 s15, s15, 0
	s_cmp_lg_u32 s25, s18
	v_or_b32_e32 v19, v0, v19
	v_or_b32_e32 v20, v1, v20
	s_cbranch_scc1 .LBB0_66
.LBB0_67:                               ;   in Loop: Header=BB0_35 Depth=1
	s_mov_b64 s[14:15], s[16:17]
	s_mov_b32 s1, 0
	s_cbranch_execz .LBB0_69
	s_branch .LBB0_70
.LBB0_68:                               ;   in Loop: Header=BB0_35 Depth=1
	s_mov_b32 s1, 0
.LBB0_69:                               ;   in Loop: Header=BB0_35 Depth=1
	global_load_dwordx2 v[19:20], v10, s[16:17]
	s_add_i32 s1, s25, -8
.LBB0_70:                               ;   in Loop: Header=BB0_35 Depth=1
	s_add_u32 s16, s14, 8
	s_addc_u32 s17, s15, 0
	s_cmp_gt_u32 s1, 7
	s_cbranch_scc1 .LBB0_75
; %bb.71:                               ;   in Loop: Header=BB0_35 Depth=1
	v_mov_b32_e32 v21, 0
	v_mov_b32_e32 v22, 0
	s_cmp_eq_u32 s1, 0
	s_cbranch_scc1 .LBB0_74
; %bb.72:                               ;   in Loop: Header=BB0_35 Depth=1
	s_mov_b64 s[16:17], 0
	s_mov_b64 s[18:19], 0
.LBB0_73:                               ;   Parent Loop BB0_35 Depth=1
                                        ; =>  This Inner Loop Header: Depth=2
	s_add_u32 s26, s14, s18
	s_addc_u32 s27, s15, s19
	s_add_u32 s18, s18, 1
	global_load_ubyte v0, v10, s[26:27]
	s_addc_u32 s19, s19, 0
	s_waitcnt vmcnt(0)
	v_and_b32_e32 v9, 0xffff, v0
	v_lshlrev_b64 v[0:1], s16, v[9:10]
	s_add_u32 s16, s16, 8
	s_addc_u32 s17, s17, 0
	s_cmp_lg_u32 s1, s18
	v_or_b32_e32 v21, v0, v21
	v_or_b32_e32 v22, v1, v22
	s_cbranch_scc1 .LBB0_73
.LBB0_74:                               ;   in Loop: Header=BB0_35 Depth=1
	s_mov_b64 s[16:17], s[14:15]
	s_mov_b32 s25, 0
	s_cbranch_execz .LBB0_76
	s_branch .LBB0_77
.LBB0_75:                               ;   in Loop: Header=BB0_35 Depth=1
                                        ; implicit-def: $vgpr21_vgpr22
	s_mov_b32 s25, 0
.LBB0_76:                               ;   in Loop: Header=BB0_35 Depth=1
	global_load_dwordx2 v[21:22], v10, s[14:15]
	s_add_i32 s25, s1, -8
.LBB0_77:                               ;   in Loop: Header=BB0_35 Depth=1
	s_cmp_gt_u32 s25, 7
	s_cbranch_scc1 .LBB0_82
; %bb.78:                               ;   in Loop: Header=BB0_35 Depth=1
	v_mov_b32_e32 v23, 0
	v_mov_b32_e32 v24, 0
	s_cmp_eq_u32 s25, 0
	s_cbranch_scc1 .LBB0_81
; %bb.79:                               ;   in Loop: Header=BB0_35 Depth=1
	s_mov_b64 s[14:15], 0
	s_mov_b64 s[18:19], s[16:17]
.LBB0_80:                               ;   Parent Loop BB0_35 Depth=1
                                        ; =>  This Inner Loop Header: Depth=2
	global_load_ubyte v0, v10, s[18:19]
	s_add_i32 s25, s25, -1
	s_waitcnt vmcnt(0)
	v_and_b32_e32 v9, 0xffff, v0
	v_lshlrev_b64 v[0:1], s14, v[9:10]
	s_add_u32 s14, s14, 8
	s_addc_u32 s15, s15, 0
	s_add_u32 s18, s18, 1
	s_addc_u32 s19, s19, 0
	s_cmp_lg_u32 s25, 0
	v_or_b32_e32 v23, v0, v23
	v_or_b32_e32 v24, v1, v24
	s_cbranch_scc1 .LBB0_80
.LBB0_81:                               ;   in Loop: Header=BB0_35 Depth=1
	s_cbranch_execz .LBB0_83
	s_branch .LBB0_84
.LBB0_82:                               ;   in Loop: Header=BB0_35 Depth=1
.LBB0_83:                               ;   in Loop: Header=BB0_35 Depth=1
	global_load_dwordx2 v[23:24], v10, s[16:17]
.LBB0_84:                               ;   in Loop: Header=BB0_35 Depth=1
	v_readfirstlane_b32 s1, v30
	v_mov_b32_e32 v0, 0
	v_mov_b32_e32 v1, 0
	v_cmp_eq_u32_e64 s1, s1, v30
	s_and_saveexec_b32 s14, s1
	s_cbranch_execz .LBB0_90
; %bb.85:                               ;   in Loop: Header=BB0_35 Depth=1
	global_load_dwordx2 v[27:28], v10, s[6:7] offset:24 glc dlc
	s_waitcnt vmcnt(0)
	buffer_gl1_inv
	buffer_gl0_inv
	s_clause 0x1
	global_load_dwordx2 v[0:1], v10, s[6:7] offset:40
	global_load_dwordx2 v[25:26], v10, s[6:7]
	s_mov_b32 s15, exec_lo
	s_waitcnt vmcnt(1)
	v_and_b32_e32 v1, v1, v28
	v_and_b32_e32 v0, v0, v27
	v_mul_lo_u32 v1, v1, 24
	v_mul_hi_u32 v9, v0, 24
	v_mul_lo_u32 v0, v0, 24
	v_add_nc_u32_e32 v1, v9, v1
	s_waitcnt vmcnt(0)
	v_add_co_u32 v0, vcc_lo, v25, v0
	v_add_co_ci_u32_e64 v1, null, v26, v1, vcc_lo
	global_load_dwordx2 v[25:26], v[0:1], off glc dlc
	s_waitcnt vmcnt(0)
	global_atomic_cmpswap_x2 v[0:1], v10, v[25:28], s[6:7] offset:24 glc
	s_waitcnt vmcnt(0)
	buffer_gl1_inv
	buffer_gl0_inv
	v_cmpx_ne_u64_e64 v[0:1], v[27:28]
	s_cbranch_execz .LBB0_89
; %bb.86:                               ;   in Loop: Header=BB0_35 Depth=1
	s_mov_b32 s16, 0
	.p2align	6
.LBB0_87:                               ;   Parent Loop BB0_35 Depth=1
                                        ; =>  This Inner Loop Header: Depth=2
	s_sleep 1
	s_clause 0x1
	global_load_dwordx2 v[25:26], v10, s[6:7] offset:40
	global_load_dwordx2 v[34:35], v10, s[6:7]
	v_mov_b32_e32 v28, v1
	v_mov_b32_e32 v27, v0
	s_waitcnt vmcnt(1)
	v_and_b32_e32 v0, v25, v27
	v_and_b32_e32 v9, v26, v28
	s_waitcnt vmcnt(0)
	v_mad_u64_u32 v[0:1], null, v0, 24, v[34:35]
	v_mad_u64_u32 v[25:26], null, v9, 24, v[1:2]
	v_mov_b32_e32 v1, v25
	global_load_dwordx2 v[25:26], v[0:1], off glc dlc
	s_waitcnt vmcnt(0)
	global_atomic_cmpswap_x2 v[0:1], v10, v[25:28], s[6:7] offset:24 glc
	s_waitcnt vmcnt(0)
	buffer_gl1_inv
	buffer_gl0_inv
	v_cmp_eq_u64_e32 vcc_lo, v[0:1], v[27:28]
	s_or_b32 s16, vcc_lo, s16
	s_andn2_b32 exec_lo, exec_lo, s16
	s_cbranch_execnz .LBB0_87
; %bb.88:                               ;   in Loop: Header=BB0_35 Depth=1
	s_or_b32 exec_lo, exec_lo, s16
.LBB0_89:                               ;   in Loop: Header=BB0_35 Depth=1
	s_or_b32 exec_lo, exec_lo, s15
.LBB0_90:                               ;   in Loop: Header=BB0_35 Depth=1
	s_or_b32 exec_lo, exec_lo, s14
	s_clause 0x1
	global_load_dwordx2 v[34:35], v10, s[6:7] offset:40
	global_load_dwordx4 v[25:28], v10, s[6:7]
	v_readfirstlane_b32 s15, v1
	v_readfirstlane_b32 s14, v0
	s_mov_b32 s18, exec_lo
	s_waitcnt vmcnt(1)
	v_readfirstlane_b32 s16, v34
	v_readfirstlane_b32 s17, v35
	s_and_b64 s[16:17], s[16:17], s[14:15]
	s_mul_i32 s19, s17, 24
	s_mul_hi_u32 s25, s16, 24
	s_mul_i32 s26, s16, 24
	s_add_i32 s25, s25, s19
	s_waitcnt vmcnt(0)
	v_add_co_u32 v0, vcc_lo, v25, s26
	v_add_co_ci_u32_e64 v1, null, s25, v26, vcc_lo
	s_and_saveexec_b32 s19, s1
	s_cbranch_execz .LBB0_92
; %bb.91:                               ;   in Loop: Header=BB0_35 Depth=1
	v_mov_b32_e32 v9, s18
	global_store_dwordx4 v[0:1], v[9:12], off offset:8
.LBB0_92:                               ;   in Loop: Header=BB0_35 Depth=1
	s_or_b32 exec_lo, exec_lo, s19
	v_cmp_lt_u64_e64 vcc_lo, s[10:11], 57
	s_lshl_b64 s[16:17], s[16:17], 12
	v_and_b32_e32 v5, 0xffffff1f, v5
	v_cndmask_b32_e32 v9, 0, v33, vcc_lo
	v_add_co_u32 v27, vcc_lo, v27, s16
	v_add_co_ci_u32_e64 v28, null, s17, v28, vcc_lo
	v_or_b32_e32 v5, v5, v9
	s_lshl_b32 s16, s12, 2
	s_add_i32 s18, s16, 28
	v_readfirstlane_b32 s16, v27
	v_readfirstlane_b32 s17, v28
	v_and_or_b32 v5, 0x1e0, s18, v5
	global_store_dwordx4 v29, v[13:16], s[16:17] offset:16
	global_store_dwordx4 v29, v[5:8], s[16:17]
	global_store_dwordx4 v29, v[17:20], s[16:17] offset:32
	global_store_dwordx4 v29, v[21:24], s[16:17] offset:48
	s_and_saveexec_b32 s16, s1
	s_cbranch_execz .LBB0_100
; %bb.93:                               ;   in Loop: Header=BB0_35 Depth=1
	s_clause 0x1
	global_load_dwordx2 v[17:18], v10, s[6:7] offset:32 glc dlc
	global_load_dwordx2 v[5:6], v10, s[6:7] offset:40
	v_mov_b32_e32 v15, s14
	v_mov_b32_e32 v16, s15
	s_waitcnt vmcnt(0)
	v_readfirstlane_b32 s18, v5
	v_readfirstlane_b32 s19, v6
	s_and_b64 s[18:19], s[18:19], s[14:15]
	s_mul_i32 s17, s19, 24
	s_mul_hi_u32 s19, s18, 24
	s_mul_i32 s18, s18, 24
	s_add_i32 s19, s19, s17
	v_add_co_u32 v13, vcc_lo, v25, s18
	v_add_co_ci_u32_e64 v14, null, s19, v26, vcc_lo
	s_mov_b32 s17, exec_lo
	global_store_dwordx2 v[13:14], v[17:18], off
	s_waitcnt_vscnt null, 0x0
	global_atomic_cmpswap_x2 v[7:8], v10, v[15:18], s[6:7] offset:32 glc
	s_waitcnt vmcnt(0)
	v_cmpx_ne_u64_e64 v[7:8], v[17:18]
	s_cbranch_execz .LBB0_96
; %bb.94:                               ;   in Loop: Header=BB0_35 Depth=1
	s_mov_b32 s18, 0
.LBB0_95:                               ;   Parent Loop BB0_35 Depth=1
                                        ; =>  This Inner Loop Header: Depth=2
	v_mov_b32_e32 v5, s14
	v_mov_b32_e32 v6, s15
	s_sleep 1
	global_store_dwordx2 v[13:14], v[7:8], off
	s_waitcnt_vscnt null, 0x0
	global_atomic_cmpswap_x2 v[5:6], v10, v[5:8], s[6:7] offset:32 glc
	s_waitcnt vmcnt(0)
	v_cmp_eq_u64_e32 vcc_lo, v[5:6], v[7:8]
	v_mov_b32_e32 v8, v6
	v_mov_b32_e32 v7, v5
	s_or_b32 s18, vcc_lo, s18
	s_andn2_b32 exec_lo, exec_lo, s18
	s_cbranch_execnz .LBB0_95
.LBB0_96:                               ;   in Loop: Header=BB0_35 Depth=1
	s_or_b32 exec_lo, exec_lo, s17
	global_load_dwordx2 v[5:6], v10, s[6:7] offset:16
	s_mov_b32 s18, exec_lo
	s_mov_b32 s17, exec_lo
	v_mbcnt_lo_u32_b32 v7, s18, 0
	v_cmpx_eq_u32_e32 0, v7
	s_cbranch_execz .LBB0_98
; %bb.97:                               ;   in Loop: Header=BB0_35 Depth=1
	s_bcnt1_i32_b32 s18, s18
	v_mov_b32_e32 v9, s18
	s_waitcnt vmcnt(0)
	global_atomic_add_x2 v[5:6], v[9:10], off offset:8
.LBB0_98:                               ;   in Loop: Header=BB0_35 Depth=1
	s_or_b32 exec_lo, exec_lo, s17
	s_waitcnt vmcnt(0)
	global_load_dwordx2 v[7:8], v[5:6], off offset:16
	s_waitcnt vmcnt(0)
	v_cmp_eq_u64_e32 vcc_lo, 0, v[7:8]
	s_cbranch_vccnz .LBB0_100
; %bb.99:                               ;   in Loop: Header=BB0_35 Depth=1
	global_load_dword v9, v[5:6], off offset:24
	s_waitcnt vmcnt(0)
	v_readfirstlane_b32 s17, v9
	s_waitcnt_vscnt null, 0x0
	global_store_dwordx2 v[7:8], v[9:10], off
	s_and_b32 m0, s17, 0x7fffff
	s_sendmsg sendmsg(MSG_INTERRUPT)
.LBB0_100:                              ;   in Loop: Header=BB0_35 Depth=1
	s_or_b32 exec_lo, exec_lo, s16
	v_add_co_u32 v5, vcc_lo, v27, v29
	v_add_co_ci_u32_e64 v6, null, 0, v28, vcc_lo
	s_branch .LBB0_104
	.p2align	6
.LBB0_101:                              ;   in Loop: Header=BB0_104 Depth=2
	s_or_b32 exec_lo, exec_lo, s16
	v_readfirstlane_b32 s16, v7
	s_cmp_eq_u32 s16, 0
	s_cbranch_scc1 .LBB0_103
; %bb.102:                              ;   in Loop: Header=BB0_104 Depth=2
	s_sleep 1
	s_cbranch_execnz .LBB0_104
	s_branch .LBB0_106
	.p2align	6
.LBB0_103:                              ;   in Loop: Header=BB0_35 Depth=1
	s_branch .LBB0_106
.LBB0_104:                              ;   Parent Loop BB0_35 Depth=1
                                        ; =>  This Inner Loop Header: Depth=2
	v_mov_b32_e32 v7, 1
	s_and_saveexec_b32 s16, s1
	s_cbranch_execz .LBB0_101
; %bb.105:                              ;   in Loop: Header=BB0_104 Depth=2
	global_load_dword v7, v[0:1], off offset:20 glc dlc
	s_waitcnt vmcnt(0)
	buffer_gl1_inv
	buffer_gl0_inv
	v_and_b32_e32 v7, 1, v7
	s_branch .LBB0_101
.LBB0_106:                              ;   in Loop: Header=BB0_35 Depth=1
	global_load_dwordx2 v[5:6], v[5:6], off
	s_and_saveexec_b32 s16, s1
	s_cbranch_execz .LBB0_34
; %bb.107:                              ;   in Loop: Header=BB0_35 Depth=1
	s_clause 0x2
	global_load_dwordx2 v[0:1], v10, s[6:7] offset:40
	global_load_dwordx2 v[17:18], v10, s[6:7] offset:24 glc dlc
	global_load_dwordx2 v[7:8], v10, s[6:7]
	s_waitcnt vmcnt(2)
	v_readfirstlane_b32 s18, v0
	v_readfirstlane_b32 s19, v1
	s_add_u32 s1, s18, 1
	s_addc_u32 s17, s19, 0
	s_add_u32 s14, s1, s14
	s_addc_u32 s15, s17, s15
	s_cmp_eq_u64 s[14:15], 0
	s_cselect_b32 s15, s17, s15
	s_cselect_b32 s14, s1, s14
	v_mov_b32_e32 v16, s15
	s_and_b64 s[18:19], s[14:15], s[18:19]
	v_mov_b32_e32 v15, s14
	s_mul_i32 s1, s19, 24
	s_mul_hi_u32 s17, s18, 24
	s_mul_i32 s18, s18, 24
	s_add_i32 s17, s17, s1
	s_waitcnt vmcnt(0)
	v_add_co_u32 v0, vcc_lo, v7, s18
	v_add_co_ci_u32_e64 v1, null, s17, v8, vcc_lo
	global_store_dwordx2 v[0:1], v[17:18], off
	s_waitcnt_vscnt null, 0x0
	global_atomic_cmpswap_x2 v[15:16], v10, v[15:18], s[6:7] offset:24 glc
	s_waitcnt vmcnt(0)
	v_cmp_ne_u64_e32 vcc_lo, v[15:16], v[17:18]
	s_and_b32 exec_lo, exec_lo, vcc_lo
	s_cbranch_execz .LBB0_34
; %bb.108:                              ;   in Loop: Header=BB0_35 Depth=1
	s_mov_b32 s1, 0
.LBB0_109:                              ;   Parent Loop BB0_35 Depth=1
                                        ; =>  This Inner Loop Header: Depth=2
	v_mov_b32_e32 v13, s14
	v_mov_b32_e32 v14, s15
	s_sleep 1
	global_store_dwordx2 v[0:1], v[15:16], off
	s_waitcnt_vscnt null, 0x0
	global_atomic_cmpswap_x2 v[7:8], v10, v[13:16], s[6:7] offset:24 glc
	s_waitcnt vmcnt(0)
	v_cmp_eq_u64_e32 vcc_lo, v[7:8], v[15:16]
	v_mov_b32_e32 v16, v8
	v_mov_b32_e32 v15, v7
	s_or_b32 s1, vcc_lo, s1
	s_andn2_b32 exec_lo, exec_lo, s1
	s_cbranch_execnz .LBB0_109
	s_branch .LBB0_34
.LBB0_110:
	s_branch .LBB0_139
.LBB0_111:
                                        ; implicit-def: $vgpr5_vgpr6
	s_cbranch_execz .LBB0_139
; %bb.112:
	v_readfirstlane_b32 s1, v30
	v_mov_b32_e32 v0, 0
	v_mov_b32_e32 v1, 0
	v_cmp_eq_u32_e64 s1, s1, v30
	s_and_saveexec_b32 s8, s1
	s_cbranch_execz .LBB0_118
; %bb.113:
	s_waitcnt vmcnt(0)
	v_mov_b32_e32 v5, 0
	s_mov_b32 s9, exec_lo
	global_load_dwordx2 v[8:9], v5, s[6:7] offset:24 glc dlc
	s_waitcnt vmcnt(0)
	buffer_gl1_inv
	buffer_gl0_inv
	s_clause 0x1
	global_load_dwordx2 v[0:1], v5, s[6:7] offset:40
	global_load_dwordx2 v[6:7], v5, s[6:7]
	s_waitcnt vmcnt(1)
	v_and_b32_e32 v1, v1, v9
	v_and_b32_e32 v0, v0, v8
	v_mul_lo_u32 v1, v1, 24
	v_mul_hi_u32 v10, v0, 24
	v_mul_lo_u32 v0, v0, 24
	v_add_nc_u32_e32 v1, v10, v1
	s_waitcnt vmcnt(0)
	v_add_co_u32 v0, vcc_lo, v6, v0
	v_add_co_ci_u32_e64 v1, null, v7, v1, vcc_lo
	global_load_dwordx2 v[6:7], v[0:1], off glc dlc
	s_waitcnt vmcnt(0)
	global_atomic_cmpswap_x2 v[0:1], v5, v[6:9], s[6:7] offset:24 glc
	s_waitcnt vmcnt(0)
	buffer_gl1_inv
	buffer_gl0_inv
	v_cmpx_ne_u64_e64 v[0:1], v[8:9]
	s_cbranch_execz .LBB0_117
; %bb.114:
	s_mov_b32 s10, 0
	.p2align	6
.LBB0_115:                              ; =>This Inner Loop Header: Depth=1
	s_sleep 1
	s_clause 0x1
	global_load_dwordx2 v[6:7], v5, s[6:7] offset:40
	global_load_dwordx2 v[10:11], v5, s[6:7]
	v_mov_b32_e32 v9, v1
	v_mov_b32_e32 v8, v0
	s_waitcnt vmcnt(1)
	v_and_b32_e32 v0, v6, v8
	v_and_b32_e32 v6, v7, v9
	s_waitcnt vmcnt(0)
	v_mad_u64_u32 v[0:1], null, v0, 24, v[10:11]
	v_mad_u64_u32 v[6:7], null, v6, 24, v[1:2]
	v_mov_b32_e32 v1, v6
	global_load_dwordx2 v[6:7], v[0:1], off glc dlc
	s_waitcnt vmcnt(0)
	global_atomic_cmpswap_x2 v[0:1], v5, v[6:9], s[6:7] offset:24 glc
	s_waitcnt vmcnt(0)
	buffer_gl1_inv
	buffer_gl0_inv
	v_cmp_eq_u64_e32 vcc_lo, v[0:1], v[8:9]
	s_or_b32 s10, vcc_lo, s10
	s_andn2_b32 exec_lo, exec_lo, s10
	s_cbranch_execnz .LBB0_115
; %bb.116:
	s_or_b32 exec_lo, exec_lo, s10
.LBB0_117:
	s_or_b32 exec_lo, exec_lo, s9
.LBB0_118:
	s_or_b32 exec_lo, exec_lo, s8
	s_waitcnt vmcnt(0)
	v_mov_b32_e32 v5, 0
	v_readfirstlane_b32 s9, v1
	v_readfirstlane_b32 s8, v0
	s_mov_b32 s12, exec_lo
	s_clause 0x1
	global_load_dwordx2 v[11:12], v5, s[6:7] offset:40
	global_load_dwordx4 v[7:10], v5, s[6:7]
	s_waitcnt vmcnt(1)
	v_readfirstlane_b32 s10, v11
	v_readfirstlane_b32 s11, v12
	s_and_b64 s[10:11], s[10:11], s[8:9]
	s_mul_i32 s13, s11, 24
	s_mul_hi_u32 s14, s10, 24
	s_mul_i32 s15, s10, 24
	s_add_i32 s14, s14, s13
	s_waitcnt vmcnt(0)
	v_add_co_u32 v0, vcc_lo, v7, s15
	v_add_co_ci_u32_e64 v1, null, s14, v8, vcc_lo
	s_and_saveexec_b32 s13, s1
	s_cbranch_execz .LBB0_120
; %bb.119:
	v_mov_b32_e32 v11, s12
	v_mov_b32_e32 v12, v5
	;; [unrolled: 1-line block ×4, first 2 shown]
	global_store_dwordx4 v[0:1], v[11:14], off offset:8
.LBB0_120:
	s_or_b32 exec_lo, exec_lo, s13
	s_lshl_b64 s[10:11], s[10:11], 12
	s_mov_b32 s12, 0
	v_add_co_u32 v9, vcc_lo, v9, s10
	v_add_co_ci_u32_e64 v10, null, s11, v10, vcc_lo
	s_mov_b32 s13, s12
	v_readfirstlane_b32 s10, v9
	v_add_co_u32 v9, vcc_lo, v9, v29
	s_mov_b32 s14, s12
	s_mov_b32 s15, s12
	v_and_or_b32 v3, 0xffffff1f, v3, 32
	v_mov_b32_e32 v6, v5
	v_readfirstlane_b32 s11, v10
	v_mov_b32_e32 v11, s12
	v_add_co_ci_u32_e64 v10, null, 0, v10, vcc_lo
	v_mov_b32_e32 v12, s13
	v_mov_b32_e32 v13, s14
	;; [unrolled: 1-line block ×3, first 2 shown]
	global_store_dwordx4 v29, v[3:6], s[10:11]
	global_store_dwordx4 v29, v[11:14], s[10:11] offset:16
	global_store_dwordx4 v29, v[11:14], s[10:11] offset:32
	;; [unrolled: 1-line block ×3, first 2 shown]
	s_and_saveexec_b32 s10, s1
	s_cbranch_execz .LBB0_128
; %bb.121:
	v_mov_b32_e32 v11, 0
	v_mov_b32_e32 v12, s8
	;; [unrolled: 1-line block ×3, first 2 shown]
	s_clause 0x1
	global_load_dwordx2 v[14:15], v11, s[6:7] offset:32 glc dlc
	global_load_dwordx2 v[3:4], v11, s[6:7] offset:40
	s_waitcnt vmcnt(0)
	v_readfirstlane_b32 s12, v3
	v_readfirstlane_b32 s13, v4
	s_and_b64 s[12:13], s[12:13], s[8:9]
	s_mul_i32 s11, s13, 24
	s_mul_hi_u32 s13, s12, 24
	s_mul_i32 s12, s12, 24
	s_add_i32 s13, s13, s11
	v_add_co_u32 v7, vcc_lo, v7, s12
	v_add_co_ci_u32_e64 v8, null, s13, v8, vcc_lo
	s_mov_b32 s11, exec_lo
	global_store_dwordx2 v[7:8], v[14:15], off
	s_waitcnt_vscnt null, 0x0
	global_atomic_cmpswap_x2 v[5:6], v11, v[12:15], s[6:7] offset:32 glc
	s_waitcnt vmcnt(0)
	v_cmpx_ne_u64_e64 v[5:6], v[14:15]
	s_cbranch_execz .LBB0_124
; %bb.122:
	s_mov_b32 s12, 0
.LBB0_123:                              ; =>This Inner Loop Header: Depth=1
	v_mov_b32_e32 v3, s8
	v_mov_b32_e32 v4, s9
	s_sleep 1
	global_store_dwordx2 v[7:8], v[5:6], off
	s_waitcnt_vscnt null, 0x0
	global_atomic_cmpswap_x2 v[3:4], v11, v[3:6], s[6:7] offset:32 glc
	s_waitcnt vmcnt(0)
	v_cmp_eq_u64_e32 vcc_lo, v[3:4], v[5:6]
	v_mov_b32_e32 v6, v4
	v_mov_b32_e32 v5, v3
	s_or_b32 s12, vcc_lo, s12
	s_andn2_b32 exec_lo, exec_lo, s12
	s_cbranch_execnz .LBB0_123
.LBB0_124:
	s_or_b32 exec_lo, exec_lo, s11
	v_mov_b32_e32 v6, 0
	s_mov_b32 s12, exec_lo
	s_mov_b32 s11, exec_lo
	v_mbcnt_lo_u32_b32 v5, s12, 0
	global_load_dwordx2 v[3:4], v6, s[6:7] offset:16
	v_cmpx_eq_u32_e32 0, v5
	s_cbranch_execz .LBB0_126
; %bb.125:
	s_bcnt1_i32_b32 s12, s12
	v_mov_b32_e32 v5, s12
	s_waitcnt vmcnt(0)
	global_atomic_add_x2 v[3:4], v[5:6], off offset:8
.LBB0_126:
	s_or_b32 exec_lo, exec_lo, s11
	s_waitcnt vmcnt(0)
	global_load_dwordx2 v[5:6], v[3:4], off offset:16
	s_waitcnt vmcnt(0)
	v_cmp_eq_u64_e32 vcc_lo, 0, v[5:6]
	s_cbranch_vccnz .LBB0_128
; %bb.127:
	global_load_dword v3, v[3:4], off offset:24
	v_mov_b32_e32 v4, 0
	s_waitcnt vmcnt(0)
	v_readfirstlane_b32 s11, v3
	s_waitcnt_vscnt null, 0x0
	global_store_dwordx2 v[5:6], v[3:4], off
	s_and_b32 m0, s11, 0x7fffff
	s_sendmsg sendmsg(MSG_INTERRUPT)
.LBB0_128:
	s_or_b32 exec_lo, exec_lo, s10
	s_branch .LBB0_132
	.p2align	6
.LBB0_129:                              ;   in Loop: Header=BB0_132 Depth=1
	s_or_b32 exec_lo, exec_lo, s10
	v_readfirstlane_b32 s10, v3
	s_cmp_eq_u32 s10, 0
	s_cbranch_scc1 .LBB0_131
; %bb.130:                              ;   in Loop: Header=BB0_132 Depth=1
	s_sleep 1
	s_cbranch_execnz .LBB0_132
	s_branch .LBB0_134
	.p2align	6
.LBB0_131:
	s_branch .LBB0_134
.LBB0_132:                              ; =>This Inner Loop Header: Depth=1
	v_mov_b32_e32 v3, 1
	s_and_saveexec_b32 s10, s1
	s_cbranch_execz .LBB0_129
; %bb.133:                              ;   in Loop: Header=BB0_132 Depth=1
	global_load_dword v3, v[0:1], off offset:20 glc dlc
	s_waitcnt vmcnt(0)
	buffer_gl1_inv
	buffer_gl0_inv
	v_and_b32_e32 v3, 1, v3
	s_branch .LBB0_129
.LBB0_134:
	global_load_dwordx2 v[5:6], v[9:10], off
	s_and_saveexec_b32 s10, s1
	s_cbranch_execz .LBB0_138
; %bb.135:
	v_mov_b32_e32 v3, 0
	s_clause 0x2
	global_load_dwordx2 v[0:1], v3, s[6:7] offset:40
	global_load_dwordx2 v[11:12], v3, s[6:7] offset:24 glc dlc
	global_load_dwordx2 v[7:8], v3, s[6:7]
	s_waitcnt vmcnt(2)
	v_readfirstlane_b32 s12, v0
	v_readfirstlane_b32 s13, v1
	s_add_u32 s1, s12, 1
	s_addc_u32 s11, s13, 0
	s_add_u32 s8, s1, s8
	s_addc_u32 s9, s11, s9
	s_cmp_eq_u64 s[8:9], 0
	s_cselect_b32 s9, s11, s9
	s_cselect_b32 s8, s1, s8
	v_mov_b32_e32 v10, s9
	s_and_b64 s[12:13], s[8:9], s[12:13]
	v_mov_b32_e32 v9, s8
	s_mul_i32 s1, s13, 24
	s_mul_hi_u32 s11, s12, 24
	s_mul_i32 s12, s12, 24
	s_add_i32 s11, s11, s1
	s_waitcnt vmcnt(0)
	v_add_co_u32 v0, vcc_lo, v7, s12
	v_add_co_ci_u32_e64 v1, null, s11, v8, vcc_lo
	global_store_dwordx2 v[0:1], v[11:12], off
	s_waitcnt_vscnt null, 0x0
	global_atomic_cmpswap_x2 v[9:10], v3, v[9:12], s[6:7] offset:24 glc
	s_waitcnt vmcnt(0)
	v_cmp_ne_u64_e32 vcc_lo, v[9:10], v[11:12]
	s_and_b32 exec_lo, exec_lo, vcc_lo
	s_cbranch_execz .LBB0_138
; %bb.136:
	s_mov_b32 s1, 0
.LBB0_137:                              ; =>This Inner Loop Header: Depth=1
	v_mov_b32_e32 v7, s8
	v_mov_b32_e32 v8, s9
	s_sleep 1
	global_store_dwordx2 v[0:1], v[9:10], off
	s_waitcnt_vscnt null, 0x0
	global_atomic_cmpswap_x2 v[7:8], v3, v[7:10], s[6:7] offset:24 glc
	s_waitcnt vmcnt(0)
	v_cmp_eq_u64_e32 vcc_lo, v[7:8], v[9:10]
	v_mov_b32_e32 v10, v8
	v_mov_b32_e32 v9, v7
	s_or_b32 s1, vcc_lo, s1
	s_andn2_b32 exec_lo, exec_lo, s1
	s_cbranch_execnz .LBB0_137
.LBB0_138:
	s_or_b32 exec_lo, exec_lo, s10
.LBB0_139:
	v_readfirstlane_b32 s1, v30
	v_mov_b32_e32 v0, 0
	v_mov_b32_e32 v1, 0
	v_cmp_eq_u32_e64 s1, s1, v30
	s_and_saveexec_b32 s8, s1
	s_cbranch_execz .LBB0_145
; %bb.140:
	s_waitcnt vmcnt(0)
	v_mov_b32_e32 v3, 0
	s_mov_b32 s9, exec_lo
	global_load_dwordx2 v[9:10], v3, s[6:7] offset:24 glc dlc
	s_waitcnt vmcnt(0)
	buffer_gl1_inv
	buffer_gl0_inv
	s_clause 0x1
	global_load_dwordx2 v[0:1], v3, s[6:7] offset:40
	global_load_dwordx2 v[7:8], v3, s[6:7]
	s_waitcnt vmcnt(1)
	v_and_b32_e32 v1, v1, v10
	v_and_b32_e32 v0, v0, v9
	v_mul_lo_u32 v1, v1, 24
	v_mul_hi_u32 v4, v0, 24
	v_mul_lo_u32 v0, v0, 24
	v_add_nc_u32_e32 v1, v4, v1
	s_waitcnt vmcnt(0)
	v_add_co_u32 v0, vcc_lo, v7, v0
	v_add_co_ci_u32_e64 v1, null, v8, v1, vcc_lo
	global_load_dwordx2 v[7:8], v[0:1], off glc dlc
	s_waitcnt vmcnt(0)
	global_atomic_cmpswap_x2 v[0:1], v3, v[7:10], s[6:7] offset:24 glc
	s_waitcnt vmcnt(0)
	buffer_gl1_inv
	buffer_gl0_inv
	v_cmpx_ne_u64_e64 v[0:1], v[9:10]
	s_cbranch_execz .LBB0_144
; %bb.141:
	s_mov_b32 s10, 0
	.p2align	6
.LBB0_142:                              ; =>This Inner Loop Header: Depth=1
	s_sleep 1
	s_clause 0x1
	global_load_dwordx2 v[7:8], v3, s[6:7] offset:40
	global_load_dwordx2 v[11:12], v3, s[6:7]
	v_mov_b32_e32 v10, v1
	v_mov_b32_e32 v9, v0
	s_waitcnt vmcnt(1)
	v_and_b32_e32 v0, v7, v9
	v_and_b32_e32 v4, v8, v10
	s_waitcnt vmcnt(0)
	v_mad_u64_u32 v[0:1], null, v0, 24, v[11:12]
	v_mad_u64_u32 v[7:8], null, v4, 24, v[1:2]
	v_mov_b32_e32 v1, v7
	global_load_dwordx2 v[7:8], v[0:1], off glc dlc
	s_waitcnt vmcnt(0)
	global_atomic_cmpswap_x2 v[0:1], v3, v[7:10], s[6:7] offset:24 glc
	s_waitcnt vmcnt(0)
	buffer_gl1_inv
	buffer_gl0_inv
	v_cmp_eq_u64_e32 vcc_lo, v[0:1], v[9:10]
	s_or_b32 s10, vcc_lo, s10
	s_andn2_b32 exec_lo, exec_lo, s10
	s_cbranch_execnz .LBB0_142
; %bb.143:
	s_or_b32 exec_lo, exec_lo, s10
.LBB0_144:
	s_or_b32 exec_lo, exec_lo, s9
.LBB0_145:
	s_or_b32 exec_lo, exec_lo, s8
	v_mov_b32_e32 v8, 0
	v_readfirstlane_b32 s9, v1
	v_readfirstlane_b32 s8, v0
	s_mov_b32 s12, exec_lo
	s_clause 0x1
	global_load_dwordx2 v[3:4], v8, s[6:7] offset:40
	global_load_dwordx4 v[9:12], v8, s[6:7]
	s_waitcnt vmcnt(1)
	v_readfirstlane_b32 s10, v3
	v_readfirstlane_b32 s11, v4
	s_and_b64 s[10:11], s[10:11], s[8:9]
	s_mul_i32 s13, s11, 24
	s_mul_hi_u32 s14, s10, 24
	s_mul_i32 s15, s10, 24
	s_add_i32 s14, s14, s13
	s_waitcnt vmcnt(0)
	v_add_co_u32 v0, vcc_lo, v9, s15
	v_add_co_ci_u32_e64 v1, null, s14, v10, vcc_lo
	s_and_saveexec_b32 s13, s1
	s_cbranch_execz .LBB0_147
; %bb.146:
	v_mov_b32_e32 v7, s12
	v_mov_b32_e32 v14, v8
	;; [unrolled: 1-line block ×5, first 2 shown]
	global_store_dwordx4 v[0:1], v[13:16], off offset:8
.LBB0_147:
	s_or_b32 exec_lo, exec_lo, s13
	s_lshl_b64 s[10:11], s[10:11], 12
	s_mov_b32 s12, 0
	v_add_co_u32 v3, vcc_lo, v11, s10
	v_add_co_ci_u32_e64 v4, null, s11, v12, vcc_lo
	s_add_i32 s10, s23, -1
	s_mov_b32 s15, s12
	v_add_co_u32 v11, vcc_lo, v3, v29
	s_mov_b32 s13, s12
	s_mov_b32 s14, s12
	v_and_or_b32 v5, 0xffffff1f, v5, 32
	v_mov_b32_e32 v7, s10
	v_readfirstlane_b32 s10, v3
	v_readfirstlane_b32 s11, v4
	v_mov_b32_e32 v16, s15
	v_add_co_ci_u32_e64 v12, null, 0, v4, vcc_lo
	v_mov_b32_e32 v15, s14
	v_mov_b32_e32 v14, s13
	;; [unrolled: 1-line block ×3, first 2 shown]
	global_store_dwordx4 v29, v[5:8], s[10:11]
	global_store_dwordx4 v29, v[13:16], s[10:11] offset:16
	global_store_dwordx4 v29, v[13:16], s[10:11] offset:32
	;; [unrolled: 1-line block ×3, first 2 shown]
	s_and_saveexec_b32 s10, s1
	s_cbranch_execz .LBB0_155
; %bb.148:
	v_mov_b32_e32 v13, 0
	v_mov_b32_e32 v14, s8
	;; [unrolled: 1-line block ×3, first 2 shown]
	s_clause 0x1
	global_load_dwordx2 v[16:17], v13, s[6:7] offset:32 glc dlc
	global_load_dwordx2 v[3:4], v13, s[6:7] offset:40
	s_waitcnt vmcnt(0)
	v_readfirstlane_b32 s12, v3
	v_readfirstlane_b32 s13, v4
	s_and_b64 s[12:13], s[12:13], s[8:9]
	s_mul_i32 s11, s13, 24
	s_mul_hi_u32 s13, s12, 24
	s_mul_i32 s12, s12, 24
	s_add_i32 s13, s13, s11
	v_add_co_u32 v7, vcc_lo, v9, s12
	v_add_co_ci_u32_e64 v8, null, s13, v10, vcc_lo
	s_mov_b32 s11, exec_lo
	global_store_dwordx2 v[7:8], v[16:17], off
	s_waitcnt_vscnt null, 0x0
	global_atomic_cmpswap_x2 v[5:6], v13, v[14:17], s[6:7] offset:32 glc
	s_waitcnt vmcnt(0)
	v_cmpx_ne_u64_e64 v[5:6], v[16:17]
	s_cbranch_execz .LBB0_151
; %bb.149:
	s_mov_b32 s12, 0
.LBB0_150:                              ; =>This Inner Loop Header: Depth=1
	v_mov_b32_e32 v3, s8
	v_mov_b32_e32 v4, s9
	s_sleep 1
	global_store_dwordx2 v[7:8], v[5:6], off
	s_waitcnt_vscnt null, 0x0
	global_atomic_cmpswap_x2 v[3:4], v13, v[3:6], s[6:7] offset:32 glc
	s_waitcnt vmcnt(0)
	v_cmp_eq_u64_e32 vcc_lo, v[3:4], v[5:6]
	v_mov_b32_e32 v6, v4
	v_mov_b32_e32 v5, v3
	s_or_b32 s12, vcc_lo, s12
	s_andn2_b32 exec_lo, exec_lo, s12
	s_cbranch_execnz .LBB0_150
.LBB0_151:
	s_or_b32 exec_lo, exec_lo, s11
	v_mov_b32_e32 v6, 0
	s_mov_b32 s12, exec_lo
	s_mov_b32 s11, exec_lo
	v_mbcnt_lo_u32_b32 v5, s12, 0
	global_load_dwordx2 v[3:4], v6, s[6:7] offset:16
	v_cmpx_eq_u32_e32 0, v5
	s_cbranch_execz .LBB0_153
; %bb.152:
	s_bcnt1_i32_b32 s12, s12
	v_mov_b32_e32 v5, s12
	s_waitcnt vmcnt(0)
	global_atomic_add_x2 v[3:4], v[5:6], off offset:8
.LBB0_153:
	s_or_b32 exec_lo, exec_lo, s11
	s_waitcnt vmcnt(0)
	global_load_dwordx2 v[5:6], v[3:4], off offset:16
	s_waitcnt vmcnt(0)
	v_cmp_eq_u64_e32 vcc_lo, 0, v[5:6]
	s_cbranch_vccnz .LBB0_155
; %bb.154:
	global_load_dword v3, v[3:4], off offset:24
	v_mov_b32_e32 v4, 0
	s_waitcnt vmcnt(0)
	v_readfirstlane_b32 s11, v3
	s_waitcnt_vscnt null, 0x0
	global_store_dwordx2 v[5:6], v[3:4], off
	s_and_b32 m0, s11, 0x7fffff
	s_sendmsg sendmsg(MSG_INTERRUPT)
.LBB0_155:
	s_or_b32 exec_lo, exec_lo, s10
	s_branch .LBB0_159
	.p2align	6
.LBB0_156:                              ;   in Loop: Header=BB0_159 Depth=1
	s_or_b32 exec_lo, exec_lo, s10
	v_readfirstlane_b32 s10, v3
	s_cmp_eq_u32 s10, 0
	s_cbranch_scc1 .LBB0_158
; %bb.157:                              ;   in Loop: Header=BB0_159 Depth=1
	s_sleep 1
	s_cbranch_execnz .LBB0_159
	s_branch .LBB0_161
	.p2align	6
.LBB0_158:
	s_branch .LBB0_161
.LBB0_159:                              ; =>This Inner Loop Header: Depth=1
	v_mov_b32_e32 v3, 1
	s_and_saveexec_b32 s10, s1
	s_cbranch_execz .LBB0_156
; %bb.160:                              ;   in Loop: Header=BB0_159 Depth=1
	global_load_dword v3, v[0:1], off offset:20 glc dlc
	s_waitcnt vmcnt(0)
	buffer_gl1_inv
	buffer_gl0_inv
	v_and_b32_e32 v3, 1, v3
	s_branch .LBB0_156
.LBB0_161:
	global_load_dwordx2 v[3:4], v[11:12], off
	s_and_saveexec_b32 s10, s1
	s_cbranch_execz .LBB0_165
; %bb.162:
	v_mov_b32_e32 v9, 0
	s_clause 0x2
	global_load_dwordx2 v[0:1], v9, s[6:7] offset:40
	global_load_dwordx2 v[12:13], v9, s[6:7] offset:24 glc dlc
	global_load_dwordx2 v[5:6], v9, s[6:7]
	s_waitcnt vmcnt(2)
	v_readfirstlane_b32 s12, v0
	v_readfirstlane_b32 s13, v1
	s_add_u32 s1, s12, 1
	s_addc_u32 s11, s13, 0
	s_add_u32 s8, s1, s8
	s_addc_u32 s9, s11, s9
	s_cmp_eq_u64 s[8:9], 0
	s_cselect_b32 s9, s11, s9
	s_cselect_b32 s8, s1, s8
	v_mov_b32_e32 v11, s9
	s_and_b64 s[12:13], s[8:9], s[12:13]
	v_mov_b32_e32 v10, s8
	s_mul_i32 s1, s13, 24
	s_mul_hi_u32 s11, s12, 24
	s_mul_i32 s12, s12, 24
	s_add_i32 s11, s11, s1
	s_waitcnt vmcnt(0)
	v_add_co_u32 v0, vcc_lo, v5, s12
	v_add_co_ci_u32_e64 v1, null, s11, v6, vcc_lo
	global_store_dwordx2 v[0:1], v[12:13], off
	s_waitcnt_vscnt null, 0x0
	global_atomic_cmpswap_x2 v[7:8], v9, v[10:13], s[6:7] offset:24 glc
	s_waitcnt vmcnt(0)
	v_cmp_ne_u64_e32 vcc_lo, v[7:8], v[12:13]
	s_and_b32 exec_lo, exec_lo, vcc_lo
	s_cbranch_execz .LBB0_165
; %bb.163:
	s_mov_b32 s1, 0
.LBB0_164:                              ; =>This Inner Loop Header: Depth=1
	v_mov_b32_e32 v5, s8
	v_mov_b32_e32 v6, s9
	s_sleep 1
	global_store_dwordx2 v[0:1], v[7:8], off
	s_waitcnt_vscnt null, 0x0
	global_atomic_cmpswap_x2 v[5:6], v9, v[5:8], s[6:7] offset:24 glc
	s_waitcnt vmcnt(0)
	v_cmp_eq_u64_e32 vcc_lo, v[5:6], v[7:8]
	v_mov_b32_e32 v8, v6
	v_mov_b32_e32 v7, v5
	s_or_b32 s1, vcc_lo, s1
	s_andn2_b32 exec_lo, exec_lo, s1
	s_cbranch_execnz .LBB0_164
.LBB0_165:
	s_or_b32 exec_lo, exec_lo, s10
	v_readfirstlane_b32 s1, v30
	v_mov_b32_e32 v0, 0
	v_mov_b32_e32 v1, 0
	v_cmp_eq_u32_e64 s1, s1, v30
	s_and_saveexec_b32 s8, s1
	s_cbranch_execz .LBB0_171
; %bb.166:
	v_mov_b32_e32 v5, 0
	s_mov_b32 s9, exec_lo
	global_load_dwordx2 v[8:9], v5, s[6:7] offset:24 glc dlc
	s_waitcnt vmcnt(0)
	buffer_gl1_inv
	buffer_gl0_inv
	s_clause 0x1
	global_load_dwordx2 v[0:1], v5, s[6:7] offset:40
	global_load_dwordx2 v[6:7], v5, s[6:7]
	s_waitcnt vmcnt(1)
	v_and_b32_e32 v1, v1, v9
	v_and_b32_e32 v0, v0, v8
	v_mul_lo_u32 v1, v1, 24
	v_mul_hi_u32 v10, v0, 24
	v_mul_lo_u32 v0, v0, 24
	v_add_nc_u32_e32 v1, v10, v1
	s_waitcnt vmcnt(0)
	v_add_co_u32 v0, vcc_lo, v6, v0
	v_add_co_ci_u32_e64 v1, null, v7, v1, vcc_lo
	global_load_dwordx2 v[6:7], v[0:1], off glc dlc
	s_waitcnt vmcnt(0)
	global_atomic_cmpswap_x2 v[0:1], v5, v[6:9], s[6:7] offset:24 glc
	s_waitcnt vmcnt(0)
	buffer_gl1_inv
	buffer_gl0_inv
	v_cmpx_ne_u64_e64 v[0:1], v[8:9]
	s_cbranch_execz .LBB0_170
; %bb.167:
	s_mov_b32 s10, 0
	.p2align	6
.LBB0_168:                              ; =>This Inner Loop Header: Depth=1
	s_sleep 1
	s_clause 0x1
	global_load_dwordx2 v[6:7], v5, s[6:7] offset:40
	global_load_dwordx2 v[10:11], v5, s[6:7]
	v_mov_b32_e32 v9, v1
	v_mov_b32_e32 v8, v0
	s_waitcnt vmcnt(1)
	v_and_b32_e32 v0, v6, v8
	v_and_b32_e32 v6, v7, v9
	s_waitcnt vmcnt(0)
	v_mad_u64_u32 v[0:1], null, v0, 24, v[10:11]
	v_mad_u64_u32 v[6:7], null, v6, 24, v[1:2]
	v_mov_b32_e32 v1, v6
	global_load_dwordx2 v[6:7], v[0:1], off glc dlc
	s_waitcnt vmcnt(0)
	global_atomic_cmpswap_x2 v[0:1], v5, v[6:9], s[6:7] offset:24 glc
	s_waitcnt vmcnt(0)
	buffer_gl1_inv
	buffer_gl0_inv
	v_cmp_eq_u64_e32 vcc_lo, v[0:1], v[8:9]
	s_or_b32 s10, vcc_lo, s10
	s_andn2_b32 exec_lo, exec_lo, s10
	s_cbranch_execnz .LBB0_168
; %bb.169:
	s_or_b32 exec_lo, exec_lo, s10
.LBB0_170:
	s_or_b32 exec_lo, exec_lo, s9
.LBB0_171:
	s_or_b32 exec_lo, exec_lo, s8
	v_mov_b32_e32 v6, 0
	v_readfirstlane_b32 s9, v1
	v_readfirstlane_b32 s8, v0
	s_mov_b32 s12, exec_lo
	s_clause 0x1
	global_load_dwordx2 v[11:12], v6, s[6:7] offset:40
	global_load_dwordx4 v[7:10], v6, s[6:7]
	s_waitcnt vmcnt(1)
	v_readfirstlane_b32 s10, v11
	v_readfirstlane_b32 s11, v12
	s_and_b64 s[10:11], s[10:11], s[8:9]
	s_mul_i32 s13, s11, 24
	s_mul_hi_u32 s14, s10, 24
	s_mul_i32 s15, s10, 24
	s_add_i32 s14, s14, s13
	s_waitcnt vmcnt(0)
	v_add_co_u32 v0, vcc_lo, v7, s15
	v_add_co_ci_u32_e64 v1, null, s14, v8, vcc_lo
	s_and_saveexec_b32 s13, s1
	s_cbranch_execz .LBB0_173
; %bb.172:
	v_mov_b32_e32 v5, s12
	v_mov_b32_e32 v12, v6
	;; [unrolled: 1-line block ×5, first 2 shown]
	global_store_dwordx4 v[0:1], v[11:14], off offset:8
.LBB0_173:
	s_or_b32 exec_lo, exec_lo, s13
	s_lshl_b64 s[10:11], s[10:11], 12
	s_mov_b32 s12, 0
	v_add_co_u32 v9, vcc_lo, v9, s10
	v_add_co_ci_u32_e64 v10, null, s11, v10, vcc_lo
	s_mov_b32 s13, s12
	s_mov_b32 s14, s12
	;; [unrolled: 1-line block ×3, first 2 shown]
	v_cndmask_b32_e64 v5, -1, v31, s0
	v_and_or_b32 v3, 0xffffff1d, v3, 34
	v_readfirstlane_b32 s10, v9
	v_readfirstlane_b32 s11, v10
	v_mov_b32_e32 v9, s12
	v_mov_b32_e32 v10, s13
	;; [unrolled: 1-line block ×4, first 2 shown]
	global_store_dwordx4 v29, v[3:6], s[10:11]
	global_store_dwordx4 v29, v[9:12], s[10:11] offset:16
	global_store_dwordx4 v29, v[9:12], s[10:11] offset:32
	;; [unrolled: 1-line block ×3, first 2 shown]
	s_and_saveexec_b32 s0, s1
	s_cbranch_execz .LBB0_181
; %bb.174:
	v_mov_b32_e32 v9, 0
	v_mov_b32_e32 v10, s8
	v_mov_b32_e32 v11, s9
	s_clause 0x1
	global_load_dwordx2 v[12:13], v9, s[6:7] offset:32 glc dlc
	global_load_dwordx2 v[3:4], v9, s[6:7] offset:40
	s_waitcnt vmcnt(0)
	v_readfirstlane_b32 s10, v3
	v_readfirstlane_b32 s11, v4
	s_and_b64 s[10:11], s[10:11], s[8:9]
	s_mul_i32 s11, s11, 24
	s_mul_hi_u32 s12, s10, 24
	s_mul_i32 s10, s10, 24
	s_add_i32 s12, s12, s11
	v_add_co_u32 v7, vcc_lo, v7, s10
	v_add_co_ci_u32_e64 v8, null, s12, v8, vcc_lo
	s_mov_b32 s10, exec_lo
	global_store_dwordx2 v[7:8], v[12:13], off
	s_waitcnt_vscnt null, 0x0
	global_atomic_cmpswap_x2 v[5:6], v9, v[10:13], s[6:7] offset:32 glc
	s_waitcnt vmcnt(0)
	v_cmpx_ne_u64_e64 v[5:6], v[12:13]
	s_cbranch_execz .LBB0_177
; %bb.175:
	s_mov_b32 s11, 0
.LBB0_176:                              ; =>This Inner Loop Header: Depth=1
	v_mov_b32_e32 v3, s8
	v_mov_b32_e32 v4, s9
	s_sleep 1
	global_store_dwordx2 v[7:8], v[5:6], off
	s_waitcnt_vscnt null, 0x0
	global_atomic_cmpswap_x2 v[3:4], v9, v[3:6], s[6:7] offset:32 glc
	s_waitcnt vmcnt(0)
	v_cmp_eq_u64_e32 vcc_lo, v[3:4], v[5:6]
	v_mov_b32_e32 v6, v4
	v_mov_b32_e32 v5, v3
	s_or_b32 s11, vcc_lo, s11
	s_andn2_b32 exec_lo, exec_lo, s11
	s_cbranch_execnz .LBB0_176
.LBB0_177:
	s_or_b32 exec_lo, exec_lo, s10
	v_mov_b32_e32 v6, 0
	s_mov_b32 s11, exec_lo
	s_mov_b32 s10, exec_lo
	v_mbcnt_lo_u32_b32 v5, s11, 0
	global_load_dwordx2 v[3:4], v6, s[6:7] offset:16
	v_cmpx_eq_u32_e32 0, v5
	s_cbranch_execz .LBB0_179
; %bb.178:
	s_bcnt1_i32_b32 s11, s11
	v_mov_b32_e32 v5, s11
	s_waitcnt vmcnt(0)
	global_atomic_add_x2 v[3:4], v[5:6], off offset:8
.LBB0_179:
	s_or_b32 exec_lo, exec_lo, s10
	s_waitcnt vmcnt(0)
	global_load_dwordx2 v[5:6], v[3:4], off offset:16
	s_waitcnt vmcnt(0)
	v_cmp_eq_u64_e32 vcc_lo, 0, v[5:6]
	s_cbranch_vccnz .LBB0_181
; %bb.180:
	global_load_dword v3, v[3:4], off offset:24
	v_mov_b32_e32 v4, 0
	s_waitcnt vmcnt(0)
	v_readfirstlane_b32 s10, v3
	s_waitcnt_vscnt null, 0x0
	global_store_dwordx2 v[5:6], v[3:4], off
	s_and_b32 m0, s10, 0x7fffff
	s_sendmsg sendmsg(MSG_INTERRUPT)
.LBB0_181:
	s_or_b32 exec_lo, exec_lo, s0
	s_branch .LBB0_185
	.p2align	6
.LBB0_182:                              ;   in Loop: Header=BB0_185 Depth=1
	s_or_b32 exec_lo, exec_lo, s0
	v_readfirstlane_b32 s0, v3
	s_cmp_eq_u32 s0, 0
	s_cbranch_scc1 .LBB0_184
; %bb.183:                              ;   in Loop: Header=BB0_185 Depth=1
	s_sleep 1
	s_cbranch_execnz .LBB0_185
	s_branch .LBB0_187
	.p2align	6
.LBB0_184:
	s_branch .LBB0_187
.LBB0_185:                              ; =>This Inner Loop Header: Depth=1
	v_mov_b32_e32 v3, 1
	s_and_saveexec_b32 s0, s1
	s_cbranch_execz .LBB0_182
; %bb.186:                              ;   in Loop: Header=BB0_185 Depth=1
	global_load_dword v3, v[0:1], off offset:20 glc dlc
	s_waitcnt vmcnt(0)
	buffer_gl1_inv
	buffer_gl0_inv
	v_and_b32_e32 v3, 1, v3
	s_branch .LBB0_182
.LBB0_187:
	s_and_saveexec_b32 s10, s1
	s_cbranch_execz .LBB0_191
; %bb.188:
	v_mov_b32_e32 v7, 0
	s_clause 0x2
	global_load_dwordx2 v[0:1], v7, s[6:7] offset:40
	global_load_dwordx2 v[10:11], v7, s[6:7] offset:24 glc dlc
	global_load_dwordx2 v[3:4], v7, s[6:7]
	s_waitcnt vmcnt(2)
	v_readfirstlane_b32 s12, v0
	v_readfirstlane_b32 s13, v1
	s_add_u32 s11, s12, 1
	s_addc_u32 s14, s13, 0
	s_add_u32 s0, s11, s8
	s_addc_u32 s1, s14, s9
	s_cmp_eq_u64 s[0:1], 0
	s_cselect_b32 s1, s14, s1
	s_cselect_b32 s0, s11, s0
	v_mov_b32_e32 v9, s1
	s_and_b64 s[8:9], s[0:1], s[12:13]
	v_mov_b32_e32 v8, s0
	s_mul_i32 s9, s9, 24
	s_mul_hi_u32 s11, s8, 24
	s_mul_i32 s8, s8, 24
	s_add_i32 s11, s11, s9
	s_waitcnt vmcnt(0)
	v_add_co_u32 v0, vcc_lo, v3, s8
	v_add_co_ci_u32_e64 v1, null, s11, v4, vcc_lo
	global_store_dwordx2 v[0:1], v[10:11], off
	s_waitcnt_vscnt null, 0x0
	global_atomic_cmpswap_x2 v[5:6], v7, v[8:11], s[6:7] offset:24 glc
	s_waitcnt vmcnt(0)
	v_cmp_ne_u64_e32 vcc_lo, v[5:6], v[10:11]
	s_and_b32 exec_lo, exec_lo, vcc_lo
	s_cbranch_execz .LBB0_191
; %bb.189:
	s_mov_b32 s8, 0
.LBB0_190:                              ; =>This Inner Loop Header: Depth=1
	v_mov_b32_e32 v3, s0
	v_mov_b32_e32 v4, s1
	s_sleep 1
	global_store_dwordx2 v[0:1], v[5:6], off
	s_waitcnt_vscnt null, 0x0
	global_atomic_cmpswap_x2 v[3:4], v7, v[3:6], s[6:7] offset:24 glc
	s_waitcnt vmcnt(0)
	v_cmp_eq_u64_e32 vcc_lo, v[3:4], v[5:6]
	v_mov_b32_e32 v6, v4
	v_mov_b32_e32 v5, v3
	s_or_b32 s8, vcc_lo, s8
	s_andn2_b32 exec_lo, exec_lo, s8
	s_cbranch_execnz .LBB0_190
.LBB0_191:
	s_or_b32 exec_lo, exec_lo, s10
	v_cvt_f32_u32_e32 v0, s20
	v_readfirstlane_b32 s0, v30
	s_sub_i32 s8, 0, s20
	v_rcp_iflag_f32_e32 v0, v0
	v_cmp_eq_u32_e64 s0, s0, v30
	v_mul_f32_e32 v0, 0x4f7ffffe, v0
	v_cvt_u32_f32_e32 v0, v0
	v_readfirstlane_b32 s1, v0
	v_mov_b32_e32 v0, 0
	v_mov_b32_e32 v1, 0
	s_mul_i32 s8, s8, s1
	s_mul_hi_u32 s12, s1, s8
	s_and_saveexec_b32 s8, s0
	s_cbranch_execz .LBB0_197
; %bb.192:
	v_mov_b32_e32 v3, 0
	s_mov_b32 s9, exec_lo
	global_load_dwordx2 v[6:7], v3, s[6:7] offset:24 glc dlc
	s_waitcnt vmcnt(0)
	buffer_gl1_inv
	buffer_gl0_inv
	s_clause 0x1
	global_load_dwordx2 v[0:1], v3, s[6:7] offset:40
	global_load_dwordx2 v[4:5], v3, s[6:7]
	s_waitcnt vmcnt(1)
	v_and_b32_e32 v1, v1, v7
	v_and_b32_e32 v0, v0, v6
	v_mul_lo_u32 v1, v1, 24
	v_mul_hi_u32 v8, v0, 24
	v_mul_lo_u32 v0, v0, 24
	v_add_nc_u32_e32 v1, v8, v1
	s_waitcnt vmcnt(0)
	v_add_co_u32 v0, vcc_lo, v4, v0
	v_add_co_ci_u32_e64 v1, null, v5, v1, vcc_lo
	global_load_dwordx2 v[4:5], v[0:1], off glc dlc
	s_waitcnt vmcnt(0)
	global_atomic_cmpswap_x2 v[0:1], v3, v[4:7], s[6:7] offset:24 glc
	s_waitcnt vmcnt(0)
	buffer_gl1_inv
	buffer_gl0_inv
	v_cmpx_ne_u64_e64 v[0:1], v[6:7]
	s_cbranch_execz .LBB0_196
; %bb.193:
	s_mov_b32 s10, 0
	.p2align	6
.LBB0_194:                              ; =>This Inner Loop Header: Depth=1
	s_sleep 1
	s_clause 0x1
	global_load_dwordx2 v[4:5], v3, s[6:7] offset:40
	global_load_dwordx2 v[8:9], v3, s[6:7]
	v_mov_b32_e32 v7, v1
	v_mov_b32_e32 v6, v0
	s_waitcnt vmcnt(1)
	v_and_b32_e32 v0, v4, v6
	v_and_b32_e32 v4, v5, v7
	s_waitcnt vmcnt(0)
	v_mad_u64_u32 v[0:1], null, v0, 24, v[8:9]
	v_mad_u64_u32 v[4:5], null, v4, 24, v[1:2]
	v_mov_b32_e32 v1, v4
	global_load_dwordx2 v[4:5], v[0:1], off glc dlc
	s_waitcnt vmcnt(0)
	global_atomic_cmpswap_x2 v[0:1], v3, v[4:7], s[6:7] offset:24 glc
	s_waitcnt vmcnt(0)
	buffer_gl1_inv
	buffer_gl0_inv
	v_cmp_eq_u64_e32 vcc_lo, v[0:1], v[6:7]
	s_or_b32 s10, vcc_lo, s10
	s_andn2_b32 exec_lo, exec_lo, s10
	s_cbranch_execnz .LBB0_194
; %bb.195:
	s_or_b32 exec_lo, exec_lo, s10
.LBB0_196:
	s_or_b32 exec_lo, exec_lo, s9
.LBB0_197:
	s_or_b32 exec_lo, exec_lo, s8
	v_mov_b32_e32 v8, 0
	v_readfirstlane_b32 s9, v1
	v_readfirstlane_b32 s8, v0
	s_mov_b32 s13, exec_lo
	s_add_i32 s1, s1, s12
	s_clause 0x1
	global_load_dwordx2 v[9:10], v8, s[6:7] offset:40
	global_load_dwordx4 v[3:6], v8, s[6:7]
	s_waitcnt vmcnt(1)
	v_readfirstlane_b32 s10, v9
	v_readfirstlane_b32 s11, v10
	s_and_b64 s[10:11], s[10:11], s[8:9]
	s_mul_i32 s14, s11, 24
	s_mul_hi_u32 s15, s10, 24
	s_mul_i32 s16, s10, 24
	s_add_i32 s15, s15, s14
	s_waitcnt vmcnt(0)
	v_add_co_u32 v0, vcc_lo, v3, s16
	v_add_co_ci_u32_e64 v1, null, s15, v4, vcc_lo
	s_and_saveexec_b32 s12, s0
	s_cbranch_execz .LBB0_199
; %bb.198:
	v_mov_b32_e32 v7, s13
	v_mov_b32_e32 v9, 2
	;; [unrolled: 1-line block ×3, first 2 shown]
	global_store_dwordx4 v[0:1], v[7:10], off offset:8
.LBB0_199:
	s_or_b32 exec_lo, exec_lo, s12
	s_lshl_b64 s[10:11], s[10:11], 12
	s_mov_b32 s12, 0
	v_add_co_u32 v5, vcc_lo, v5, s10
	v_add_co_ci_u32_e64 v6, null, s11, v6, vcc_lo
	s_mov_b32 s15, s12
	v_add_co_u32 v11, vcc_lo, v5, v29
	s_mov_b32 s13, s12
	s_mov_b32 s14, s12
	v_mov_b32_e32 v7, 33
	v_mov_b32_e32 v9, v8
	;; [unrolled: 1-line block ×3, first 2 shown]
	v_readfirstlane_b32 s10, v5
	v_readfirstlane_b32 s11, v6
	v_mov_b32_e32 v16, s15
	v_add_co_ci_u32_e64 v12, null, 0, v6, vcc_lo
	v_mov_b32_e32 v15, s14
	v_mov_b32_e32 v14, s13
	;; [unrolled: 1-line block ×3, first 2 shown]
	s_mul_hi_u32 s18, s23, s1
	global_store_dwordx4 v29, v[7:10], s[10:11]
	global_store_dwordx4 v29, v[13:16], s[10:11] offset:16
	global_store_dwordx4 v29, v[13:16], s[10:11] offset:32
	global_store_dwordx4 v29, v[13:16], s[10:11] offset:48
	s_and_saveexec_b32 s1, s0
	s_cbranch_execz .LBB0_207
; %bb.200:
	v_mov_b32_e32 v9, 0
	v_mov_b32_e32 v13, s8
	;; [unrolled: 1-line block ×3, first 2 shown]
	s_clause 0x1
	global_load_dwordx2 v[15:16], v9, s[6:7] offset:32 glc dlc
	global_load_dwordx2 v[5:6], v9, s[6:7] offset:40
	s_waitcnt vmcnt(0)
	v_readfirstlane_b32 s10, v5
	v_readfirstlane_b32 s11, v6
	s_and_b64 s[10:11], s[10:11], s[8:9]
	s_mul_i32 s11, s11, 24
	s_mul_hi_u32 s12, s10, 24
	s_mul_i32 s10, s10, 24
	s_add_i32 s12, s12, s11
	v_add_co_u32 v7, vcc_lo, v3, s10
	v_add_co_ci_u32_e64 v8, null, s12, v4, vcc_lo
	s_mov_b32 s10, exec_lo
	global_store_dwordx2 v[7:8], v[15:16], off
	s_waitcnt_vscnt null, 0x0
	global_atomic_cmpswap_x2 v[5:6], v9, v[13:16], s[6:7] offset:32 glc
	s_waitcnt vmcnt(0)
	v_cmpx_ne_u64_e64 v[5:6], v[15:16]
	s_cbranch_execz .LBB0_203
; %bb.201:
	s_mov_b32 s11, 0
.LBB0_202:                              ; =>This Inner Loop Header: Depth=1
	v_mov_b32_e32 v3, s8
	v_mov_b32_e32 v4, s9
	s_sleep 1
	global_store_dwordx2 v[7:8], v[5:6], off
	s_waitcnt_vscnt null, 0x0
	global_atomic_cmpswap_x2 v[3:4], v9, v[3:6], s[6:7] offset:32 glc
	s_waitcnt vmcnt(0)
	v_cmp_eq_u64_e32 vcc_lo, v[3:4], v[5:6]
	v_mov_b32_e32 v6, v4
	v_mov_b32_e32 v5, v3
	s_or_b32 s11, vcc_lo, s11
	s_andn2_b32 exec_lo, exec_lo, s11
	s_cbranch_execnz .LBB0_202
.LBB0_203:
	s_or_b32 exec_lo, exec_lo, s10
	v_mov_b32_e32 v6, 0
	s_mov_b32 s11, exec_lo
	s_mov_b32 s10, exec_lo
	v_mbcnt_lo_u32_b32 v5, s11, 0
	global_load_dwordx2 v[3:4], v6, s[6:7] offset:16
	v_cmpx_eq_u32_e32 0, v5
	s_cbranch_execz .LBB0_205
; %bb.204:
	s_bcnt1_i32_b32 s11, s11
	v_mov_b32_e32 v5, s11
	s_waitcnt vmcnt(0)
	global_atomic_add_x2 v[3:4], v[5:6], off offset:8
.LBB0_205:
	s_or_b32 exec_lo, exec_lo, s10
	s_waitcnt vmcnt(0)
	global_load_dwordx2 v[5:6], v[3:4], off offset:16
	s_waitcnt vmcnt(0)
	v_cmp_eq_u64_e32 vcc_lo, 0, v[5:6]
	s_cbranch_vccnz .LBB0_207
; %bb.206:
	global_load_dword v3, v[3:4], off offset:24
	v_mov_b32_e32 v4, 0
	s_waitcnt vmcnt(0)
	v_readfirstlane_b32 s10, v3
	s_waitcnt_vscnt null, 0x0
	global_store_dwordx2 v[5:6], v[3:4], off
	s_and_b32 m0, s10, 0x7fffff
	s_sendmsg sendmsg(MSG_INTERRUPT)
.LBB0_207:
	s_or_b32 exec_lo, exec_lo, s1
	s_branch .LBB0_211
	.p2align	6
.LBB0_208:                              ;   in Loop: Header=BB0_211 Depth=1
	s_or_b32 exec_lo, exec_lo, s1
	v_readfirstlane_b32 s1, v3
	s_cmp_eq_u32 s1, 0
	s_cbranch_scc1 .LBB0_210
; %bb.209:                              ;   in Loop: Header=BB0_211 Depth=1
	s_sleep 1
	s_cbranch_execnz .LBB0_211
	s_branch .LBB0_213
	.p2align	6
.LBB0_210:
	s_branch .LBB0_213
.LBB0_211:                              ; =>This Inner Loop Header: Depth=1
	v_mov_b32_e32 v3, 1
	s_and_saveexec_b32 s1, s0
	s_cbranch_execz .LBB0_208
; %bb.212:                              ;   in Loop: Header=BB0_211 Depth=1
	global_load_dword v3, v[0:1], off offset:20 glc dlc
	s_waitcnt vmcnt(0)
	buffer_gl1_inv
	buffer_gl0_inv
	v_and_b32_e32 v3, 1, v3
	s_branch .LBB0_208
.LBB0_213:
	global_load_dwordx2 v[3:4], v[11:12], off
	s_and_saveexec_b32 s10, s0
	s_cbranch_execz .LBB0_217
; %bb.214:
	v_mov_b32_e32 v9, 0
	s_clause 0x2
	global_load_dwordx2 v[0:1], v9, s[6:7] offset:40
	global_load_dwordx2 v[12:13], v9, s[6:7] offset:24 glc dlc
	global_load_dwordx2 v[5:6], v9, s[6:7]
	s_waitcnt vmcnt(2)
	v_readfirstlane_b32 s12, v0
	v_readfirstlane_b32 s13, v1
	s_add_u32 s11, s12, 1
	s_addc_u32 s14, s13, 0
	s_add_u32 s0, s11, s8
	s_addc_u32 s1, s14, s9
	s_cmp_eq_u64 s[0:1], 0
	s_cselect_b32 s1, s14, s1
	s_cselect_b32 s0, s11, s0
	v_mov_b32_e32 v11, s1
	s_and_b64 s[8:9], s[0:1], s[12:13]
	v_mov_b32_e32 v10, s0
	s_mul_i32 s9, s9, 24
	s_mul_hi_u32 s11, s8, 24
	s_mul_i32 s8, s8, 24
	s_add_i32 s11, s11, s9
	s_waitcnt vmcnt(0)
	v_add_co_u32 v0, vcc_lo, v5, s8
	v_add_co_ci_u32_e64 v1, null, s11, v6, vcc_lo
	global_store_dwordx2 v[0:1], v[12:13], off
	s_waitcnt_vscnt null, 0x0
	global_atomic_cmpswap_x2 v[7:8], v9, v[10:13], s[6:7] offset:24 glc
	s_waitcnt vmcnt(0)
	v_cmp_ne_u64_e32 vcc_lo, v[7:8], v[12:13]
	s_and_b32 exec_lo, exec_lo, vcc_lo
	s_cbranch_execz .LBB0_217
; %bb.215:
	s_mov_b32 s8, 0
.LBB0_216:                              ; =>This Inner Loop Header: Depth=1
	v_mov_b32_e32 v5, s0
	v_mov_b32_e32 v6, s1
	s_sleep 1
	global_store_dwordx2 v[0:1], v[7:8], off
	s_waitcnt_vscnt null, 0x0
	global_atomic_cmpswap_x2 v[5:6], v9, v[5:8], s[6:7] offset:24 glc
	s_waitcnt vmcnt(0)
	v_cmp_eq_u64_e32 vcc_lo, v[5:6], v[7:8]
	v_mov_b32_e32 v8, v6
	v_mov_b32_e32 v7, v5
	s_or_b32 s8, vcc_lo, s8
	s_andn2_b32 exec_lo, exec_lo, s8
	s_cbranch_execnz .LBB0_216
.LBB0_217:
	s_or_b32 exec_lo, exec_lo, s10
	s_getpc_b64 s[8:9]
	s_add_u32 s8, s8, .str.1@rel32@lo+4
	s_addc_u32 s9, s9, .str.1@rel32@hi+12
	s_cmp_lg_u64 s[8:9], 0
	s_cbranch_scc0 .LBB0_296
; %bb.218:
	s_waitcnt vmcnt(0)
	v_and_b32_e32 v31, 2, v3
	v_mov_b32_e32 v10, 0
	v_and_b32_e32 v5, -3, v3
	v_mov_b32_e32 v6, v4
	v_mov_b32_e32 v11, 2
	;; [unrolled: 1-line block ×3, first 2 shown]
	s_mov_b64 s[10:11], 48
	s_branch .LBB0_220
.LBB0_219:                              ;   in Loop: Header=BB0_220 Depth=1
	s_or_b32 exec_lo, exec_lo, s16
	s_sub_u32 s10, s10, s12
	s_subb_u32 s11, s11, s13
	s_add_u32 s8, s8, s12
	s_addc_u32 s9, s9, s13
	s_cmp_lg_u64 s[10:11], 0
	s_cbranch_scc0 .LBB0_295
.LBB0_220:                              ; =>This Loop Header: Depth=1
                                        ;     Child Loop BB0_223 Depth 2
                                        ;     Child Loop BB0_230 Depth 2
                                        ;     Child Loop BB0_237 Depth 2
                                        ;     Child Loop BB0_244 Depth 2
                                        ;     Child Loop BB0_251 Depth 2
                                        ;     Child Loop BB0_258 Depth 2
                                        ;     Child Loop BB0_265 Depth 2
                                        ;     Child Loop BB0_272 Depth 2
                                        ;     Child Loop BB0_280 Depth 2
                                        ;     Child Loop BB0_289 Depth 2
                                        ;     Child Loop BB0_294 Depth 2
	v_cmp_lt_u64_e64 s0, s[10:11], 56
	v_cmp_gt_u64_e64 s14, s[10:11], 7
	s_and_b32 s0, s0, exec_lo
	s_cselect_b32 s13, s11, 0
	s_cselect_b32 s12, s10, 56
	s_add_u32 s0, s8, 8
	s_addc_u32 s1, s9, 0
	s_and_b32 vcc_lo, exec_lo, s14
	s_cbranch_vccnz .LBB0_225
; %bb.221:                              ;   in Loop: Header=BB0_220 Depth=1
	v_mov_b32_e32 v7, 0
	v_mov_b32_e32 v8, 0
	s_cmp_eq_u64 s[10:11], 0
	s_cbranch_scc1 .LBB0_224
; %bb.222:                              ;   in Loop: Header=BB0_220 Depth=1
	s_lshl_b64 s[0:1], s[12:13], 3
	s_mov_b64 s[14:15], 0
	s_mov_b64 s[16:17], s[8:9]
.LBB0_223:                              ;   Parent Loop BB0_220 Depth=1
                                        ; =>  This Inner Loop Header: Depth=2
	global_load_ubyte v0, v10, s[16:17]
	s_waitcnt vmcnt(0)
	v_and_b32_e32 v9, 0xffff, v0
	v_lshlrev_b64 v[0:1], s14, v[9:10]
	s_add_u32 s14, s14, 8
	s_addc_u32 s15, s15, 0
	s_add_u32 s16, s16, 1
	s_addc_u32 s17, s17, 0
	s_cmp_lg_u32 s0, s14
	v_or_b32_e32 v7, v0, v7
	v_or_b32_e32 v8, v1, v8
	s_cbranch_scc1 .LBB0_223
.LBB0_224:                              ;   in Loop: Header=BB0_220 Depth=1
	s_mov_b64 s[0:1], s[8:9]
	s_mov_b32 s19, 0
	s_cbranch_execz .LBB0_226
	s_branch .LBB0_227
.LBB0_225:                              ;   in Loop: Header=BB0_220 Depth=1
	s_mov_b32 s19, 0
.LBB0_226:                              ;   in Loop: Header=BB0_220 Depth=1
	global_load_dwordx2 v[7:8], v10, s[8:9]
	s_add_i32 s19, s12, -8
.LBB0_227:                              ;   in Loop: Header=BB0_220 Depth=1
	s_add_u32 s14, s0, 8
	s_addc_u32 s15, s1, 0
	s_cmp_gt_u32 s19, 7
	s_cbranch_scc1 .LBB0_232
; %bb.228:                              ;   in Loop: Header=BB0_220 Depth=1
	v_mov_b32_e32 v13, 0
	v_mov_b32_e32 v14, 0
	s_cmp_eq_u32 s19, 0
	s_cbranch_scc1 .LBB0_231
; %bb.229:                              ;   in Loop: Header=BB0_220 Depth=1
	s_mov_b64 s[14:15], 0
	s_mov_b64 s[16:17], 0
.LBB0_230:                              ;   Parent Loop BB0_220 Depth=1
                                        ; =>  This Inner Loop Header: Depth=2
	s_add_u32 s26, s0, s16
	s_addc_u32 s27, s1, s17
	s_add_u32 s16, s16, 1
	global_load_ubyte v0, v10, s[26:27]
	s_addc_u32 s17, s17, 0
	s_waitcnt vmcnt(0)
	v_and_b32_e32 v9, 0xffff, v0
	v_lshlrev_b64 v[0:1], s14, v[9:10]
	s_add_u32 s14, s14, 8
	s_addc_u32 s15, s15, 0
	s_cmp_lg_u32 s19, s16
	v_or_b32_e32 v13, v0, v13
	v_or_b32_e32 v14, v1, v14
	s_cbranch_scc1 .LBB0_230
.LBB0_231:                              ;   in Loop: Header=BB0_220 Depth=1
	s_mov_b64 s[14:15], s[0:1]
	s_mov_b32 s25, 0
	s_cbranch_execz .LBB0_233
	s_branch .LBB0_234
.LBB0_232:                              ;   in Loop: Header=BB0_220 Depth=1
                                        ; implicit-def: $vgpr13_vgpr14
	s_mov_b32 s25, 0
.LBB0_233:                              ;   in Loop: Header=BB0_220 Depth=1
	global_load_dwordx2 v[13:14], v10, s[0:1]
	s_add_i32 s25, s19, -8
.LBB0_234:                              ;   in Loop: Header=BB0_220 Depth=1
	s_add_u32 s0, s14, 8
	s_addc_u32 s1, s15, 0
	s_cmp_gt_u32 s25, 7
	s_cbranch_scc1 .LBB0_239
; %bb.235:                              ;   in Loop: Header=BB0_220 Depth=1
	v_mov_b32_e32 v15, 0
	v_mov_b32_e32 v16, 0
	s_cmp_eq_u32 s25, 0
	s_cbranch_scc1 .LBB0_238
; %bb.236:                              ;   in Loop: Header=BB0_220 Depth=1
	s_mov_b64 s[0:1], 0
	s_mov_b64 s[16:17], 0
.LBB0_237:                              ;   Parent Loop BB0_220 Depth=1
                                        ; =>  This Inner Loop Header: Depth=2
	s_add_u32 s26, s14, s16
	s_addc_u32 s27, s15, s17
	s_add_u32 s16, s16, 1
	global_load_ubyte v0, v10, s[26:27]
	s_addc_u32 s17, s17, 0
	s_waitcnt vmcnt(0)
	v_and_b32_e32 v9, 0xffff, v0
	v_lshlrev_b64 v[0:1], s0, v[9:10]
	s_add_u32 s0, s0, 8
	s_addc_u32 s1, s1, 0
	s_cmp_lg_u32 s25, s16
	v_or_b32_e32 v15, v0, v15
	v_or_b32_e32 v16, v1, v16
	s_cbranch_scc1 .LBB0_237
.LBB0_238:                              ;   in Loop: Header=BB0_220 Depth=1
	s_mov_b64 s[0:1], s[14:15]
	s_mov_b32 s19, 0
	s_cbranch_execz .LBB0_240
	s_branch .LBB0_241
.LBB0_239:                              ;   in Loop: Header=BB0_220 Depth=1
	s_mov_b32 s19, 0
.LBB0_240:                              ;   in Loop: Header=BB0_220 Depth=1
	global_load_dwordx2 v[15:16], v10, s[14:15]
	s_add_i32 s19, s25, -8
.LBB0_241:                              ;   in Loop: Header=BB0_220 Depth=1
	s_add_u32 s14, s0, 8
	s_addc_u32 s15, s1, 0
	s_cmp_gt_u32 s19, 7
	s_cbranch_scc1 .LBB0_246
; %bb.242:                              ;   in Loop: Header=BB0_220 Depth=1
	v_mov_b32_e32 v17, 0
	v_mov_b32_e32 v18, 0
	s_cmp_eq_u32 s19, 0
	s_cbranch_scc1 .LBB0_245
; %bb.243:                              ;   in Loop: Header=BB0_220 Depth=1
	s_mov_b64 s[14:15], 0
	s_mov_b64 s[16:17], 0
.LBB0_244:                              ;   Parent Loop BB0_220 Depth=1
                                        ; =>  This Inner Loop Header: Depth=2
	s_add_u32 s26, s0, s16
	s_addc_u32 s27, s1, s17
	s_add_u32 s16, s16, 1
	global_load_ubyte v0, v10, s[26:27]
	s_addc_u32 s17, s17, 0
	s_waitcnt vmcnt(0)
	v_and_b32_e32 v9, 0xffff, v0
	v_lshlrev_b64 v[0:1], s14, v[9:10]
	s_add_u32 s14, s14, 8
	s_addc_u32 s15, s15, 0
	s_cmp_lg_u32 s19, s16
	v_or_b32_e32 v17, v0, v17
	v_or_b32_e32 v18, v1, v18
	s_cbranch_scc1 .LBB0_244
.LBB0_245:                              ;   in Loop: Header=BB0_220 Depth=1
	s_mov_b64 s[14:15], s[0:1]
	s_mov_b32 s25, 0
	s_cbranch_execz .LBB0_247
	s_branch .LBB0_248
.LBB0_246:                              ;   in Loop: Header=BB0_220 Depth=1
                                        ; implicit-def: $vgpr17_vgpr18
	s_mov_b32 s25, 0
.LBB0_247:                              ;   in Loop: Header=BB0_220 Depth=1
	global_load_dwordx2 v[17:18], v10, s[0:1]
	s_add_i32 s25, s19, -8
.LBB0_248:                              ;   in Loop: Header=BB0_220 Depth=1
	s_add_u32 s0, s14, 8
	s_addc_u32 s1, s15, 0
	s_cmp_gt_u32 s25, 7
	s_cbranch_scc1 .LBB0_253
; %bb.249:                              ;   in Loop: Header=BB0_220 Depth=1
	v_mov_b32_e32 v19, 0
	v_mov_b32_e32 v20, 0
	s_cmp_eq_u32 s25, 0
	s_cbranch_scc1 .LBB0_252
; %bb.250:                              ;   in Loop: Header=BB0_220 Depth=1
	s_mov_b64 s[0:1], 0
	s_mov_b64 s[16:17], 0
.LBB0_251:                              ;   Parent Loop BB0_220 Depth=1
                                        ; =>  This Inner Loop Header: Depth=2
	s_add_u32 s26, s14, s16
	s_addc_u32 s27, s15, s17
	s_add_u32 s16, s16, 1
	global_load_ubyte v0, v10, s[26:27]
	s_addc_u32 s17, s17, 0
	s_waitcnt vmcnt(0)
	v_and_b32_e32 v9, 0xffff, v0
	v_lshlrev_b64 v[0:1], s0, v[9:10]
	s_add_u32 s0, s0, 8
	s_addc_u32 s1, s1, 0
	s_cmp_lg_u32 s25, s16
	v_or_b32_e32 v19, v0, v19
	v_or_b32_e32 v20, v1, v20
	s_cbranch_scc1 .LBB0_251
.LBB0_252:                              ;   in Loop: Header=BB0_220 Depth=1
	s_mov_b64 s[0:1], s[14:15]
	s_mov_b32 s19, 0
	s_cbranch_execz .LBB0_254
	s_branch .LBB0_255
.LBB0_253:                              ;   in Loop: Header=BB0_220 Depth=1
	s_mov_b32 s19, 0
.LBB0_254:                              ;   in Loop: Header=BB0_220 Depth=1
	global_load_dwordx2 v[19:20], v10, s[14:15]
	s_add_i32 s19, s25, -8
.LBB0_255:                              ;   in Loop: Header=BB0_220 Depth=1
	s_add_u32 s14, s0, 8
	s_addc_u32 s15, s1, 0
	s_cmp_gt_u32 s19, 7
	s_cbranch_scc1 .LBB0_260
; %bb.256:                              ;   in Loop: Header=BB0_220 Depth=1
	v_mov_b32_e32 v21, 0
	v_mov_b32_e32 v22, 0
	s_cmp_eq_u32 s19, 0
	s_cbranch_scc1 .LBB0_259
; %bb.257:                              ;   in Loop: Header=BB0_220 Depth=1
	s_mov_b64 s[14:15], 0
	s_mov_b64 s[16:17], 0
.LBB0_258:                              ;   Parent Loop BB0_220 Depth=1
                                        ; =>  This Inner Loop Header: Depth=2
	s_add_u32 s26, s0, s16
	s_addc_u32 s27, s1, s17
	s_add_u32 s16, s16, 1
	global_load_ubyte v0, v10, s[26:27]
	s_addc_u32 s17, s17, 0
	s_waitcnt vmcnt(0)
	v_and_b32_e32 v9, 0xffff, v0
	v_lshlrev_b64 v[0:1], s14, v[9:10]
	s_add_u32 s14, s14, 8
	s_addc_u32 s15, s15, 0
	s_cmp_lg_u32 s19, s16
	v_or_b32_e32 v21, v0, v21
	v_or_b32_e32 v22, v1, v22
	s_cbranch_scc1 .LBB0_258
.LBB0_259:                              ;   in Loop: Header=BB0_220 Depth=1
	s_mov_b64 s[14:15], s[0:1]
	s_mov_b32 s25, 0
	s_cbranch_execz .LBB0_261
	s_branch .LBB0_262
.LBB0_260:                              ;   in Loop: Header=BB0_220 Depth=1
                                        ; implicit-def: $vgpr21_vgpr22
	s_mov_b32 s25, 0
.LBB0_261:                              ;   in Loop: Header=BB0_220 Depth=1
	global_load_dwordx2 v[21:22], v10, s[0:1]
	s_add_i32 s25, s19, -8
.LBB0_262:                              ;   in Loop: Header=BB0_220 Depth=1
	s_cmp_gt_u32 s25, 7
	s_cbranch_scc1 .LBB0_267
; %bb.263:                              ;   in Loop: Header=BB0_220 Depth=1
	v_mov_b32_e32 v23, 0
	v_mov_b32_e32 v24, 0
	s_cmp_eq_u32 s25, 0
	s_cbranch_scc1 .LBB0_266
; %bb.264:                              ;   in Loop: Header=BB0_220 Depth=1
	s_mov_b64 s[0:1], 0
	s_mov_b64 s[16:17], s[14:15]
.LBB0_265:                              ;   Parent Loop BB0_220 Depth=1
                                        ; =>  This Inner Loop Header: Depth=2
	global_load_ubyte v0, v10, s[16:17]
	s_add_i32 s25, s25, -1
	s_waitcnt vmcnt(0)
	v_and_b32_e32 v9, 0xffff, v0
	v_lshlrev_b64 v[0:1], s0, v[9:10]
	s_add_u32 s0, s0, 8
	s_addc_u32 s1, s1, 0
	s_add_u32 s16, s16, 1
	s_addc_u32 s17, s17, 0
	s_cmp_lg_u32 s25, 0
	v_or_b32_e32 v23, v0, v23
	v_or_b32_e32 v24, v1, v24
	s_cbranch_scc1 .LBB0_265
.LBB0_266:                              ;   in Loop: Header=BB0_220 Depth=1
	s_cbranch_execz .LBB0_268
	s_branch .LBB0_269
.LBB0_267:                              ;   in Loop: Header=BB0_220 Depth=1
.LBB0_268:                              ;   in Loop: Header=BB0_220 Depth=1
	global_load_dwordx2 v[23:24], v10, s[14:15]
.LBB0_269:                              ;   in Loop: Header=BB0_220 Depth=1
	v_readfirstlane_b32 s0, v30
	v_mov_b32_e32 v0, 0
	v_mov_b32_e32 v1, 0
	v_cmp_eq_u32_e64 s0, s0, v30
	s_and_saveexec_b32 s1, s0
	s_cbranch_execz .LBB0_275
; %bb.270:                              ;   in Loop: Header=BB0_220 Depth=1
	global_load_dwordx2 v[27:28], v10, s[6:7] offset:24 glc dlc
	s_waitcnt vmcnt(0)
	buffer_gl1_inv
	buffer_gl0_inv
	s_clause 0x1
	global_load_dwordx2 v[0:1], v10, s[6:7] offset:40
	global_load_dwordx2 v[25:26], v10, s[6:7]
	s_mov_b32 s14, exec_lo
	s_waitcnt vmcnt(1)
	v_and_b32_e32 v1, v1, v28
	v_and_b32_e32 v0, v0, v27
	v_mul_lo_u32 v1, v1, 24
	v_mul_hi_u32 v9, v0, 24
	v_mul_lo_u32 v0, v0, 24
	v_add_nc_u32_e32 v1, v9, v1
	s_waitcnt vmcnt(0)
	v_add_co_u32 v0, vcc_lo, v25, v0
	v_add_co_ci_u32_e64 v1, null, v26, v1, vcc_lo
	global_load_dwordx2 v[25:26], v[0:1], off glc dlc
	s_waitcnt vmcnt(0)
	global_atomic_cmpswap_x2 v[0:1], v10, v[25:28], s[6:7] offset:24 glc
	s_waitcnt vmcnt(0)
	buffer_gl1_inv
	buffer_gl0_inv
	v_cmpx_ne_u64_e64 v[0:1], v[27:28]
	s_cbranch_execz .LBB0_274
; %bb.271:                              ;   in Loop: Header=BB0_220 Depth=1
	s_mov_b32 s15, 0
	.p2align	6
.LBB0_272:                              ;   Parent Loop BB0_220 Depth=1
                                        ; =>  This Inner Loop Header: Depth=2
	s_sleep 1
	s_clause 0x1
	global_load_dwordx2 v[25:26], v10, s[6:7] offset:40
	global_load_dwordx2 v[33:34], v10, s[6:7]
	v_mov_b32_e32 v28, v1
	v_mov_b32_e32 v27, v0
	s_waitcnt vmcnt(1)
	v_and_b32_e32 v0, v25, v27
	v_and_b32_e32 v9, v26, v28
	s_waitcnt vmcnt(0)
	v_mad_u64_u32 v[0:1], null, v0, 24, v[33:34]
	v_mad_u64_u32 v[25:26], null, v9, 24, v[1:2]
	v_mov_b32_e32 v1, v25
	global_load_dwordx2 v[25:26], v[0:1], off glc dlc
	s_waitcnt vmcnt(0)
	global_atomic_cmpswap_x2 v[0:1], v10, v[25:28], s[6:7] offset:24 glc
	s_waitcnt vmcnt(0)
	buffer_gl1_inv
	buffer_gl0_inv
	v_cmp_eq_u64_e32 vcc_lo, v[0:1], v[27:28]
	s_or_b32 s15, vcc_lo, s15
	s_andn2_b32 exec_lo, exec_lo, s15
	s_cbranch_execnz .LBB0_272
; %bb.273:                              ;   in Loop: Header=BB0_220 Depth=1
	s_or_b32 exec_lo, exec_lo, s15
.LBB0_274:                              ;   in Loop: Header=BB0_220 Depth=1
	s_or_b32 exec_lo, exec_lo, s14
.LBB0_275:                              ;   in Loop: Header=BB0_220 Depth=1
	s_or_b32 exec_lo, exec_lo, s1
	s_clause 0x1
	global_load_dwordx2 v[33:34], v10, s[6:7] offset:40
	global_load_dwordx4 v[25:28], v10, s[6:7]
	v_readfirstlane_b32 s15, v1
	v_readfirstlane_b32 s14, v0
	s_mov_b32 s1, exec_lo
	s_waitcnt vmcnt(1)
	v_readfirstlane_b32 s16, v33
	v_readfirstlane_b32 s17, v34
	s_and_b64 s[16:17], s[16:17], s[14:15]
	s_mul_i32 s19, s17, 24
	s_mul_hi_u32 s25, s16, 24
	s_mul_i32 s26, s16, 24
	s_add_i32 s25, s25, s19
	s_waitcnt vmcnt(0)
	v_add_co_u32 v0, vcc_lo, v25, s26
	v_add_co_ci_u32_e64 v1, null, s25, v26, vcc_lo
	s_and_saveexec_b32 s19, s0
	s_cbranch_execz .LBB0_277
; %bb.276:                              ;   in Loop: Header=BB0_220 Depth=1
	v_mov_b32_e32 v9, s1
	global_store_dwordx4 v[0:1], v[9:12], off offset:8
.LBB0_277:                              ;   in Loop: Header=BB0_220 Depth=1
	s_or_b32 exec_lo, exec_lo, s19
	v_cmp_lt_u64_e64 vcc_lo, s[10:11], 57
	s_lshl_b64 s[16:17], s[16:17], 12
	v_and_b32_e32 v5, 0xffffff1f, v5
	s_lshl_b32 s1, s12, 2
	s_add_i32 s1, s1, 28
	v_cndmask_b32_e32 v9, 0, v31, vcc_lo
	v_add_co_u32 v27, vcc_lo, v27, s16
	v_add_co_ci_u32_e64 v28, null, s17, v28, vcc_lo
	v_or_b32_e32 v5, v5, v9
	v_readfirstlane_b32 s16, v27
	v_readfirstlane_b32 s17, v28
	v_and_or_b32 v5, 0x1e0, s1, v5
	global_store_dwordx4 v29, v[13:16], s[16:17] offset:16
	global_store_dwordx4 v29, v[5:8], s[16:17]
	global_store_dwordx4 v29, v[17:20], s[16:17] offset:32
	global_store_dwordx4 v29, v[21:24], s[16:17] offset:48
	s_and_saveexec_b32 s1, s0
	s_cbranch_execz .LBB0_285
; %bb.278:                              ;   in Loop: Header=BB0_220 Depth=1
	s_clause 0x1
	global_load_dwordx2 v[17:18], v10, s[6:7] offset:32 glc dlc
	global_load_dwordx2 v[5:6], v10, s[6:7] offset:40
	v_mov_b32_e32 v15, s14
	v_mov_b32_e32 v16, s15
	s_waitcnt vmcnt(0)
	v_readfirstlane_b32 s16, v5
	v_readfirstlane_b32 s17, v6
	s_and_b64 s[16:17], s[16:17], s[14:15]
	s_mul_i32 s17, s17, 24
	s_mul_hi_u32 s19, s16, 24
	s_mul_i32 s16, s16, 24
	s_add_i32 s19, s19, s17
	v_add_co_u32 v13, vcc_lo, v25, s16
	v_add_co_ci_u32_e64 v14, null, s19, v26, vcc_lo
	s_mov_b32 s16, exec_lo
	global_store_dwordx2 v[13:14], v[17:18], off
	s_waitcnt_vscnt null, 0x0
	global_atomic_cmpswap_x2 v[7:8], v10, v[15:18], s[6:7] offset:32 glc
	s_waitcnt vmcnt(0)
	v_cmpx_ne_u64_e64 v[7:8], v[17:18]
	s_cbranch_execz .LBB0_281
; %bb.279:                              ;   in Loop: Header=BB0_220 Depth=1
	s_mov_b32 s17, 0
.LBB0_280:                              ;   Parent Loop BB0_220 Depth=1
                                        ; =>  This Inner Loop Header: Depth=2
	v_mov_b32_e32 v5, s14
	v_mov_b32_e32 v6, s15
	s_sleep 1
	global_store_dwordx2 v[13:14], v[7:8], off
	s_waitcnt_vscnt null, 0x0
	global_atomic_cmpswap_x2 v[5:6], v10, v[5:8], s[6:7] offset:32 glc
	s_waitcnt vmcnt(0)
	v_cmp_eq_u64_e32 vcc_lo, v[5:6], v[7:8]
	v_mov_b32_e32 v8, v6
	v_mov_b32_e32 v7, v5
	s_or_b32 s17, vcc_lo, s17
	s_andn2_b32 exec_lo, exec_lo, s17
	s_cbranch_execnz .LBB0_280
.LBB0_281:                              ;   in Loop: Header=BB0_220 Depth=1
	s_or_b32 exec_lo, exec_lo, s16
	global_load_dwordx2 v[5:6], v10, s[6:7] offset:16
	s_mov_b32 s17, exec_lo
	s_mov_b32 s16, exec_lo
	v_mbcnt_lo_u32_b32 v7, s17, 0
	v_cmpx_eq_u32_e32 0, v7
	s_cbranch_execz .LBB0_283
; %bb.282:                              ;   in Loop: Header=BB0_220 Depth=1
	s_bcnt1_i32_b32 s17, s17
	v_mov_b32_e32 v9, s17
	s_waitcnt vmcnt(0)
	global_atomic_add_x2 v[5:6], v[9:10], off offset:8
.LBB0_283:                              ;   in Loop: Header=BB0_220 Depth=1
	s_or_b32 exec_lo, exec_lo, s16
	s_waitcnt vmcnt(0)
	global_load_dwordx2 v[7:8], v[5:6], off offset:16
	s_waitcnt vmcnt(0)
	v_cmp_eq_u64_e32 vcc_lo, 0, v[7:8]
	s_cbranch_vccnz .LBB0_285
; %bb.284:                              ;   in Loop: Header=BB0_220 Depth=1
	global_load_dword v9, v[5:6], off offset:24
	s_waitcnt vmcnt(0)
	v_readfirstlane_b32 s16, v9
	s_waitcnt_vscnt null, 0x0
	global_store_dwordx2 v[7:8], v[9:10], off
	s_and_b32 m0, s16, 0x7fffff
	s_sendmsg sendmsg(MSG_INTERRUPT)
.LBB0_285:                              ;   in Loop: Header=BB0_220 Depth=1
	s_or_b32 exec_lo, exec_lo, s1
	v_add_co_u32 v5, vcc_lo, v27, v29
	v_add_co_ci_u32_e64 v6, null, 0, v28, vcc_lo
	s_branch .LBB0_289
	.p2align	6
.LBB0_286:                              ;   in Loop: Header=BB0_289 Depth=2
	s_or_b32 exec_lo, exec_lo, s1
	v_readfirstlane_b32 s1, v7
	s_cmp_eq_u32 s1, 0
	s_cbranch_scc1 .LBB0_288
; %bb.287:                              ;   in Loop: Header=BB0_289 Depth=2
	s_sleep 1
	s_cbranch_execnz .LBB0_289
	s_branch .LBB0_291
	.p2align	6
.LBB0_288:                              ;   in Loop: Header=BB0_220 Depth=1
	s_branch .LBB0_291
.LBB0_289:                              ;   Parent Loop BB0_220 Depth=1
                                        ; =>  This Inner Loop Header: Depth=2
	v_mov_b32_e32 v7, 1
	s_and_saveexec_b32 s1, s0
	s_cbranch_execz .LBB0_286
; %bb.290:                              ;   in Loop: Header=BB0_289 Depth=2
	global_load_dword v7, v[0:1], off offset:20 glc dlc
	s_waitcnt vmcnt(0)
	buffer_gl1_inv
	buffer_gl0_inv
	v_and_b32_e32 v7, 1, v7
	s_branch .LBB0_286
.LBB0_291:                              ;   in Loop: Header=BB0_220 Depth=1
	global_load_dwordx2 v[5:6], v[5:6], off
	s_and_saveexec_b32 s16, s0
	s_cbranch_execz .LBB0_219
; %bb.292:                              ;   in Loop: Header=BB0_220 Depth=1
	s_clause 0x2
	global_load_dwordx2 v[0:1], v10, s[6:7] offset:40
	global_load_dwordx2 v[17:18], v10, s[6:7] offset:24 glc dlc
	global_load_dwordx2 v[7:8], v10, s[6:7]
	s_waitcnt vmcnt(2)
	v_readfirstlane_b32 s26, v0
	v_readfirstlane_b32 s27, v1
	s_add_u32 s17, s26, 1
	s_addc_u32 s19, s27, 0
	s_add_u32 s0, s17, s14
	s_addc_u32 s1, s19, s15
	s_cmp_eq_u64 s[0:1], 0
	s_cselect_b32 s1, s19, s1
	s_cselect_b32 s0, s17, s0
	v_mov_b32_e32 v16, s1
	s_and_b64 s[14:15], s[0:1], s[26:27]
	v_mov_b32_e32 v15, s0
	s_mul_i32 s15, s15, 24
	s_mul_hi_u32 s17, s14, 24
	s_mul_i32 s14, s14, 24
	s_add_i32 s17, s17, s15
	s_waitcnt vmcnt(0)
	v_add_co_u32 v0, vcc_lo, v7, s14
	v_add_co_ci_u32_e64 v1, null, s17, v8, vcc_lo
	global_store_dwordx2 v[0:1], v[17:18], off
	s_waitcnt_vscnt null, 0x0
	global_atomic_cmpswap_x2 v[15:16], v10, v[15:18], s[6:7] offset:24 glc
	s_waitcnt vmcnt(0)
	v_cmp_ne_u64_e32 vcc_lo, v[15:16], v[17:18]
	s_and_b32 exec_lo, exec_lo, vcc_lo
	s_cbranch_execz .LBB0_219
; %bb.293:                              ;   in Loop: Header=BB0_220 Depth=1
	s_mov_b32 s14, 0
.LBB0_294:                              ;   Parent Loop BB0_220 Depth=1
                                        ; =>  This Inner Loop Header: Depth=2
	v_mov_b32_e32 v13, s0
	v_mov_b32_e32 v14, s1
	s_sleep 1
	global_store_dwordx2 v[0:1], v[15:16], off
	s_waitcnt_vscnt null, 0x0
	global_atomic_cmpswap_x2 v[7:8], v10, v[13:16], s[6:7] offset:24 glc
	s_waitcnt vmcnt(0)
	v_cmp_eq_u64_e32 vcc_lo, v[7:8], v[15:16]
	v_mov_b32_e32 v16, v8
	v_mov_b32_e32 v15, v7
	s_or_b32 s14, vcc_lo, s14
	s_andn2_b32 exec_lo, exec_lo, s14
	s_cbranch_execnz .LBB0_294
	s_branch .LBB0_219
.LBB0_295:
	s_branch .LBB0_324
.LBB0_296:
                                        ; implicit-def: $vgpr5_vgpr6
	s_cbranch_execz .LBB0_324
; %bb.297:
	v_readfirstlane_b32 s0, v30
	v_mov_b32_e32 v0, 0
	v_mov_b32_e32 v1, 0
	v_cmp_eq_u32_e64 s0, s0, v30
	s_and_saveexec_b32 s1, s0
	s_cbranch_execz .LBB0_303
; %bb.298:
	s_waitcnt vmcnt(0)
	v_mov_b32_e32 v5, 0
	s_mov_b32 s8, exec_lo
	global_load_dwordx2 v[8:9], v5, s[6:7] offset:24 glc dlc
	s_waitcnt vmcnt(0)
	buffer_gl1_inv
	buffer_gl0_inv
	s_clause 0x1
	global_load_dwordx2 v[0:1], v5, s[6:7] offset:40
	global_load_dwordx2 v[6:7], v5, s[6:7]
	s_waitcnt vmcnt(1)
	v_and_b32_e32 v1, v1, v9
	v_and_b32_e32 v0, v0, v8
	v_mul_lo_u32 v1, v1, 24
	v_mul_hi_u32 v10, v0, 24
	v_mul_lo_u32 v0, v0, 24
	v_add_nc_u32_e32 v1, v10, v1
	s_waitcnt vmcnt(0)
	v_add_co_u32 v0, vcc_lo, v6, v0
	v_add_co_ci_u32_e64 v1, null, v7, v1, vcc_lo
	global_load_dwordx2 v[6:7], v[0:1], off glc dlc
	s_waitcnt vmcnt(0)
	global_atomic_cmpswap_x2 v[0:1], v5, v[6:9], s[6:7] offset:24 glc
	s_waitcnt vmcnt(0)
	buffer_gl1_inv
	buffer_gl0_inv
	v_cmpx_ne_u64_e64 v[0:1], v[8:9]
	s_cbranch_execz .LBB0_302
; %bb.299:
	s_mov_b32 s9, 0
	.p2align	6
.LBB0_300:                              ; =>This Inner Loop Header: Depth=1
	s_sleep 1
	s_clause 0x1
	global_load_dwordx2 v[6:7], v5, s[6:7] offset:40
	global_load_dwordx2 v[10:11], v5, s[6:7]
	v_mov_b32_e32 v9, v1
	v_mov_b32_e32 v8, v0
	s_waitcnt vmcnt(1)
	v_and_b32_e32 v0, v6, v8
	v_and_b32_e32 v6, v7, v9
	s_waitcnt vmcnt(0)
	v_mad_u64_u32 v[0:1], null, v0, 24, v[10:11]
	v_mad_u64_u32 v[6:7], null, v6, 24, v[1:2]
	v_mov_b32_e32 v1, v6
	global_load_dwordx2 v[6:7], v[0:1], off glc dlc
	s_waitcnt vmcnt(0)
	global_atomic_cmpswap_x2 v[0:1], v5, v[6:9], s[6:7] offset:24 glc
	s_waitcnt vmcnt(0)
	buffer_gl1_inv
	buffer_gl0_inv
	v_cmp_eq_u64_e32 vcc_lo, v[0:1], v[8:9]
	s_or_b32 s9, vcc_lo, s9
	s_andn2_b32 exec_lo, exec_lo, s9
	s_cbranch_execnz .LBB0_300
; %bb.301:
	s_or_b32 exec_lo, exec_lo, s9
.LBB0_302:
	s_or_b32 exec_lo, exec_lo, s8
.LBB0_303:
	s_or_b32 exec_lo, exec_lo, s1
	s_waitcnt vmcnt(0)
	v_mov_b32_e32 v5, 0
	v_readfirstlane_b32 s9, v1
	v_readfirstlane_b32 s8, v0
	s_mov_b32 s1, exec_lo
	s_clause 0x1
	global_load_dwordx2 v[11:12], v5, s[6:7] offset:40
	global_load_dwordx4 v[7:10], v5, s[6:7]
	s_waitcnt vmcnt(1)
	v_readfirstlane_b32 s10, v11
	v_readfirstlane_b32 s11, v12
	s_and_b64 s[10:11], s[10:11], s[8:9]
	s_mul_i32 s12, s11, 24
	s_mul_hi_u32 s13, s10, 24
	s_mul_i32 s14, s10, 24
	s_add_i32 s13, s13, s12
	s_waitcnt vmcnt(0)
	v_add_co_u32 v0, vcc_lo, v7, s14
	v_add_co_ci_u32_e64 v1, null, s13, v8, vcc_lo
	s_and_saveexec_b32 s12, s0
	s_cbranch_execz .LBB0_305
; %bb.304:
	v_mov_b32_e32 v11, s1
	v_mov_b32_e32 v12, v5
	;; [unrolled: 1-line block ×4, first 2 shown]
	global_store_dwordx4 v[0:1], v[11:14], off offset:8
.LBB0_305:
	s_or_b32 exec_lo, exec_lo, s12
	s_lshl_b64 s[10:11], s[10:11], 12
	s_mov_b32 s12, 0
	v_add_co_u32 v9, vcc_lo, v9, s10
	v_add_co_ci_u32_e64 v10, null, s11, v10, vcc_lo
	s_mov_b32 s13, s12
	v_readfirstlane_b32 s10, v9
	v_add_co_u32 v9, vcc_lo, v9, v29
	s_mov_b32 s14, s12
	s_mov_b32 s15, s12
	v_and_or_b32 v3, 0xffffff1f, v3, 32
	v_mov_b32_e32 v6, v5
	v_readfirstlane_b32 s11, v10
	v_mov_b32_e32 v11, s12
	v_add_co_ci_u32_e64 v10, null, 0, v10, vcc_lo
	v_mov_b32_e32 v12, s13
	v_mov_b32_e32 v13, s14
	;; [unrolled: 1-line block ×3, first 2 shown]
	global_store_dwordx4 v29, v[3:6], s[10:11]
	global_store_dwordx4 v29, v[11:14], s[10:11] offset:16
	global_store_dwordx4 v29, v[11:14], s[10:11] offset:32
	;; [unrolled: 1-line block ×3, first 2 shown]
	s_and_saveexec_b32 s1, s0
	s_cbranch_execz .LBB0_313
; %bb.306:
	v_mov_b32_e32 v11, 0
	v_mov_b32_e32 v12, s8
	;; [unrolled: 1-line block ×3, first 2 shown]
	s_clause 0x1
	global_load_dwordx2 v[14:15], v11, s[6:7] offset:32 glc dlc
	global_load_dwordx2 v[3:4], v11, s[6:7] offset:40
	s_waitcnt vmcnt(0)
	v_readfirstlane_b32 s10, v3
	v_readfirstlane_b32 s11, v4
	s_and_b64 s[10:11], s[10:11], s[8:9]
	s_mul_i32 s11, s11, 24
	s_mul_hi_u32 s12, s10, 24
	s_mul_i32 s10, s10, 24
	s_add_i32 s12, s12, s11
	v_add_co_u32 v7, vcc_lo, v7, s10
	v_add_co_ci_u32_e64 v8, null, s12, v8, vcc_lo
	s_mov_b32 s10, exec_lo
	global_store_dwordx2 v[7:8], v[14:15], off
	s_waitcnt_vscnt null, 0x0
	global_atomic_cmpswap_x2 v[5:6], v11, v[12:15], s[6:7] offset:32 glc
	s_waitcnt vmcnt(0)
	v_cmpx_ne_u64_e64 v[5:6], v[14:15]
	s_cbranch_execz .LBB0_309
; %bb.307:
	s_mov_b32 s11, 0
.LBB0_308:                              ; =>This Inner Loop Header: Depth=1
	v_mov_b32_e32 v3, s8
	v_mov_b32_e32 v4, s9
	s_sleep 1
	global_store_dwordx2 v[7:8], v[5:6], off
	s_waitcnt_vscnt null, 0x0
	global_atomic_cmpswap_x2 v[3:4], v11, v[3:6], s[6:7] offset:32 glc
	s_waitcnt vmcnt(0)
	v_cmp_eq_u64_e32 vcc_lo, v[3:4], v[5:6]
	v_mov_b32_e32 v6, v4
	v_mov_b32_e32 v5, v3
	s_or_b32 s11, vcc_lo, s11
	s_andn2_b32 exec_lo, exec_lo, s11
	s_cbranch_execnz .LBB0_308
.LBB0_309:
	s_or_b32 exec_lo, exec_lo, s10
	v_mov_b32_e32 v6, 0
	s_mov_b32 s11, exec_lo
	s_mov_b32 s10, exec_lo
	v_mbcnt_lo_u32_b32 v5, s11, 0
	global_load_dwordx2 v[3:4], v6, s[6:7] offset:16
	v_cmpx_eq_u32_e32 0, v5
	s_cbranch_execz .LBB0_311
; %bb.310:
	s_bcnt1_i32_b32 s11, s11
	v_mov_b32_e32 v5, s11
	s_waitcnt vmcnt(0)
	global_atomic_add_x2 v[3:4], v[5:6], off offset:8
.LBB0_311:
	s_or_b32 exec_lo, exec_lo, s10
	s_waitcnt vmcnt(0)
	global_load_dwordx2 v[5:6], v[3:4], off offset:16
	s_waitcnt vmcnt(0)
	v_cmp_eq_u64_e32 vcc_lo, 0, v[5:6]
	s_cbranch_vccnz .LBB0_313
; %bb.312:
	global_load_dword v3, v[3:4], off offset:24
	v_mov_b32_e32 v4, 0
	s_waitcnt vmcnt(0)
	v_readfirstlane_b32 s10, v3
	s_waitcnt_vscnt null, 0x0
	global_store_dwordx2 v[5:6], v[3:4], off
	s_and_b32 m0, s10, 0x7fffff
	s_sendmsg sendmsg(MSG_INTERRUPT)
.LBB0_313:
	s_or_b32 exec_lo, exec_lo, s1
	s_branch .LBB0_317
	.p2align	6
.LBB0_314:                              ;   in Loop: Header=BB0_317 Depth=1
	s_or_b32 exec_lo, exec_lo, s1
	v_readfirstlane_b32 s1, v3
	s_cmp_eq_u32 s1, 0
	s_cbranch_scc1 .LBB0_316
; %bb.315:                              ;   in Loop: Header=BB0_317 Depth=1
	s_sleep 1
	s_cbranch_execnz .LBB0_317
	s_branch .LBB0_319
	.p2align	6
.LBB0_316:
	s_branch .LBB0_319
.LBB0_317:                              ; =>This Inner Loop Header: Depth=1
	v_mov_b32_e32 v3, 1
	s_and_saveexec_b32 s1, s0
	s_cbranch_execz .LBB0_314
; %bb.318:                              ;   in Loop: Header=BB0_317 Depth=1
	global_load_dword v3, v[0:1], off offset:20 glc dlc
	s_waitcnt vmcnt(0)
	buffer_gl1_inv
	buffer_gl0_inv
	v_and_b32_e32 v3, 1, v3
	s_branch .LBB0_314
.LBB0_319:
	global_load_dwordx2 v[5:6], v[9:10], off
	s_and_saveexec_b32 s10, s0
	s_cbranch_execz .LBB0_323
; %bb.320:
	v_mov_b32_e32 v3, 0
	s_clause 0x2
	global_load_dwordx2 v[0:1], v3, s[6:7] offset:40
	global_load_dwordx2 v[11:12], v3, s[6:7] offset:24 glc dlc
	global_load_dwordx2 v[7:8], v3, s[6:7]
	s_waitcnt vmcnt(2)
	v_readfirstlane_b32 s12, v0
	v_readfirstlane_b32 s13, v1
	s_add_u32 s11, s12, 1
	s_addc_u32 s14, s13, 0
	s_add_u32 s0, s11, s8
	s_addc_u32 s1, s14, s9
	s_cmp_eq_u64 s[0:1], 0
	s_cselect_b32 s1, s14, s1
	s_cselect_b32 s0, s11, s0
	v_mov_b32_e32 v10, s1
	s_and_b64 s[8:9], s[0:1], s[12:13]
	v_mov_b32_e32 v9, s0
	s_mul_i32 s9, s9, 24
	s_mul_hi_u32 s11, s8, 24
	s_mul_i32 s8, s8, 24
	s_add_i32 s11, s11, s9
	s_waitcnt vmcnt(0)
	v_add_co_u32 v0, vcc_lo, v7, s8
	v_add_co_ci_u32_e64 v1, null, s11, v8, vcc_lo
	global_store_dwordx2 v[0:1], v[11:12], off
	s_waitcnt_vscnt null, 0x0
	global_atomic_cmpswap_x2 v[9:10], v3, v[9:12], s[6:7] offset:24 glc
	s_waitcnt vmcnt(0)
	v_cmp_ne_u64_e32 vcc_lo, v[9:10], v[11:12]
	s_and_b32 exec_lo, exec_lo, vcc_lo
	s_cbranch_execz .LBB0_323
; %bb.321:
	s_mov_b32 s8, 0
.LBB0_322:                              ; =>This Inner Loop Header: Depth=1
	v_mov_b32_e32 v7, s0
	v_mov_b32_e32 v8, s1
	s_sleep 1
	global_store_dwordx2 v[0:1], v[9:10], off
	s_waitcnt_vscnt null, 0x0
	global_atomic_cmpswap_x2 v[7:8], v3, v[7:10], s[6:7] offset:24 glc
	s_waitcnt vmcnt(0)
	v_cmp_eq_u64_e32 vcc_lo, v[7:8], v[9:10]
	v_mov_b32_e32 v10, v8
	v_mov_b32_e32 v9, v7
	s_or_b32 s8, vcc_lo, s8
	s_andn2_b32 exec_lo, exec_lo, s8
	s_cbranch_execnz .LBB0_322
.LBB0_323:
	s_or_b32 exec_lo, exec_lo, s10
.LBB0_324:
	v_readfirstlane_b32 s0, v30
	v_mov_b32_e32 v0, 0
	v_mov_b32_e32 v1, 0
	v_cmp_eq_u32_e64 s0, s0, v30
	s_and_saveexec_b32 s1, s0
	s_cbranch_execz .LBB0_330
; %bb.325:
	s_waitcnt vmcnt(0)
	v_mov_b32_e32 v3, 0
	s_mov_b32 s8, exec_lo
	global_load_dwordx2 v[9:10], v3, s[6:7] offset:24 glc dlc
	s_waitcnt vmcnt(0)
	buffer_gl1_inv
	buffer_gl0_inv
	s_clause 0x1
	global_load_dwordx2 v[0:1], v3, s[6:7] offset:40
	global_load_dwordx2 v[7:8], v3, s[6:7]
	s_waitcnt vmcnt(1)
	v_and_b32_e32 v1, v1, v10
	v_and_b32_e32 v0, v0, v9
	v_mul_lo_u32 v1, v1, 24
	v_mul_hi_u32 v4, v0, 24
	v_mul_lo_u32 v0, v0, 24
	v_add_nc_u32_e32 v1, v4, v1
	s_waitcnt vmcnt(0)
	v_add_co_u32 v0, vcc_lo, v7, v0
	v_add_co_ci_u32_e64 v1, null, v8, v1, vcc_lo
	global_load_dwordx2 v[7:8], v[0:1], off glc dlc
	s_waitcnt vmcnt(0)
	global_atomic_cmpswap_x2 v[0:1], v3, v[7:10], s[6:7] offset:24 glc
	s_waitcnt vmcnt(0)
	buffer_gl1_inv
	buffer_gl0_inv
	v_cmpx_ne_u64_e64 v[0:1], v[9:10]
	s_cbranch_execz .LBB0_329
; %bb.326:
	s_mov_b32 s9, 0
	.p2align	6
.LBB0_327:                              ; =>This Inner Loop Header: Depth=1
	s_sleep 1
	s_clause 0x1
	global_load_dwordx2 v[7:8], v3, s[6:7] offset:40
	global_load_dwordx2 v[11:12], v3, s[6:7]
	v_mov_b32_e32 v10, v1
	v_mov_b32_e32 v9, v0
	s_waitcnt vmcnt(1)
	v_and_b32_e32 v0, v7, v9
	v_and_b32_e32 v4, v8, v10
	s_waitcnt vmcnt(0)
	v_mad_u64_u32 v[0:1], null, v0, 24, v[11:12]
	v_mad_u64_u32 v[7:8], null, v4, 24, v[1:2]
	v_mov_b32_e32 v1, v7
	global_load_dwordx2 v[7:8], v[0:1], off glc dlc
	s_waitcnt vmcnt(0)
	global_atomic_cmpswap_x2 v[0:1], v3, v[7:10], s[6:7] offset:24 glc
	s_waitcnt vmcnt(0)
	buffer_gl1_inv
	buffer_gl0_inv
	v_cmp_eq_u64_e32 vcc_lo, v[0:1], v[9:10]
	s_or_b32 s9, vcc_lo, s9
	s_andn2_b32 exec_lo, exec_lo, s9
	s_cbranch_execnz .LBB0_327
; %bb.328:
	s_or_b32 exec_lo, exec_lo, s9
.LBB0_329:
	s_or_b32 exec_lo, exec_lo, s8
.LBB0_330:
	s_or_b32 exec_lo, exec_lo, s1
	v_mov_b32_e32 v8, 0
	v_readfirstlane_b32 s9, v1
	v_readfirstlane_b32 s8, v0
	s_mov_b32 s1, exec_lo
	s_clause 0x1
	global_load_dwordx2 v[3:4], v8, s[6:7] offset:40
	global_load_dwordx4 v[9:12], v8, s[6:7]
	s_waitcnt vmcnt(1)
	v_readfirstlane_b32 s10, v3
	v_readfirstlane_b32 s11, v4
	s_and_b64 s[10:11], s[10:11], s[8:9]
	s_mul_i32 s12, s11, 24
	s_mul_hi_u32 s13, s10, 24
	s_mul_i32 s14, s10, 24
	s_add_i32 s13, s13, s12
	s_waitcnt vmcnt(0)
	v_add_co_u32 v0, vcc_lo, v9, s14
	v_add_co_ci_u32_e64 v1, null, s13, v10, vcc_lo
	s_and_saveexec_b32 s12, s0
	s_cbranch_execz .LBB0_332
; %bb.331:
	v_mov_b32_e32 v7, s1
	v_mov_b32_e32 v14, v8
	;; [unrolled: 1-line block ×5, first 2 shown]
	global_store_dwordx4 v[0:1], v[13:16], off offset:8
.LBB0_332:
	s_or_b32 exec_lo, exec_lo, s12
	s_mul_i32 s1, s18, s20
	s_lshl_b64 s[10:11], s[10:11], 12
	s_sub_i32 s1, s23, s1
	s_add_i32 s12, s18, 1
	s_sub_i32 s13, s1, s20
	s_cmp_ge_u32 s1, s20
	v_add_co_u32 v3, vcc_lo, v11, s10
	s_cselect_b32 s12, s12, s18
	s_cselect_b32 s1, s13, s1
	s_add_i32 s13, s12, 1
	s_cmp_ge_u32 s1, s20
	v_add_co_ci_u32_e64 v4, null, s11, v12, vcc_lo
	s_cselect_b32 s1, s13, s12
	s_mov_b32 s12, 0
	v_add_co_u32 v11, vcc_lo, v3, v29
	s_mov_b32 s15, s12
	s_mov_b32 s13, s12
	;; [unrolled: 1-line block ×3, first 2 shown]
	v_and_or_b32 v5, 0xffffff1f, v5, 32
	v_mov_b32_e32 v7, s1
	v_readfirstlane_b32 s10, v3
	v_readfirstlane_b32 s11, v4
	v_mov_b32_e32 v16, s15
	v_add_co_ci_u32_e64 v12, null, 0, v4, vcc_lo
	v_mov_b32_e32 v15, s14
	v_mov_b32_e32 v14, s13
	;; [unrolled: 1-line block ×3, first 2 shown]
	global_store_dwordx4 v29, v[5:8], s[10:11]
	global_store_dwordx4 v29, v[13:16], s[10:11] offset:16
	global_store_dwordx4 v29, v[13:16], s[10:11] offset:32
	;; [unrolled: 1-line block ×3, first 2 shown]
	s_and_saveexec_b32 s1, s0
	s_cbranch_execz .LBB0_340
; %bb.333:
	v_mov_b32_e32 v13, 0
	v_mov_b32_e32 v14, s8
	;; [unrolled: 1-line block ×3, first 2 shown]
	s_clause 0x1
	global_load_dwordx2 v[16:17], v13, s[6:7] offset:32 glc dlc
	global_load_dwordx2 v[3:4], v13, s[6:7] offset:40
	s_waitcnt vmcnt(0)
	v_readfirstlane_b32 s10, v3
	v_readfirstlane_b32 s11, v4
	s_and_b64 s[10:11], s[10:11], s[8:9]
	s_mul_i32 s11, s11, 24
	s_mul_hi_u32 s12, s10, 24
	s_mul_i32 s10, s10, 24
	s_add_i32 s12, s12, s11
	v_add_co_u32 v7, vcc_lo, v9, s10
	v_add_co_ci_u32_e64 v8, null, s12, v10, vcc_lo
	s_mov_b32 s10, exec_lo
	global_store_dwordx2 v[7:8], v[16:17], off
	s_waitcnt_vscnt null, 0x0
	global_atomic_cmpswap_x2 v[5:6], v13, v[14:17], s[6:7] offset:32 glc
	s_waitcnt vmcnt(0)
	v_cmpx_ne_u64_e64 v[5:6], v[16:17]
	s_cbranch_execz .LBB0_336
; %bb.334:
	s_mov_b32 s11, 0
.LBB0_335:                              ; =>This Inner Loop Header: Depth=1
	v_mov_b32_e32 v3, s8
	v_mov_b32_e32 v4, s9
	s_sleep 1
	global_store_dwordx2 v[7:8], v[5:6], off
	s_waitcnt_vscnt null, 0x0
	global_atomic_cmpswap_x2 v[3:4], v13, v[3:6], s[6:7] offset:32 glc
	s_waitcnt vmcnt(0)
	v_cmp_eq_u64_e32 vcc_lo, v[3:4], v[5:6]
	v_mov_b32_e32 v6, v4
	v_mov_b32_e32 v5, v3
	s_or_b32 s11, vcc_lo, s11
	s_andn2_b32 exec_lo, exec_lo, s11
	s_cbranch_execnz .LBB0_335
.LBB0_336:
	s_or_b32 exec_lo, exec_lo, s10
	v_mov_b32_e32 v6, 0
	s_mov_b32 s11, exec_lo
	s_mov_b32 s10, exec_lo
	v_mbcnt_lo_u32_b32 v5, s11, 0
	global_load_dwordx2 v[3:4], v6, s[6:7] offset:16
	v_cmpx_eq_u32_e32 0, v5
	s_cbranch_execz .LBB0_338
; %bb.337:
	s_bcnt1_i32_b32 s11, s11
	v_mov_b32_e32 v5, s11
	s_waitcnt vmcnt(0)
	global_atomic_add_x2 v[3:4], v[5:6], off offset:8
.LBB0_338:
	s_or_b32 exec_lo, exec_lo, s10
	s_waitcnt vmcnt(0)
	global_load_dwordx2 v[5:6], v[3:4], off offset:16
	s_waitcnt vmcnt(0)
	v_cmp_eq_u64_e32 vcc_lo, 0, v[5:6]
	s_cbranch_vccnz .LBB0_340
; %bb.339:
	global_load_dword v3, v[3:4], off offset:24
	v_mov_b32_e32 v4, 0
	s_waitcnt vmcnt(0)
	v_readfirstlane_b32 s10, v3
	s_waitcnt_vscnt null, 0x0
	global_store_dwordx2 v[5:6], v[3:4], off
	s_and_b32 m0, s10, 0x7fffff
	s_sendmsg sendmsg(MSG_INTERRUPT)
.LBB0_340:
	s_or_b32 exec_lo, exec_lo, s1
	s_branch .LBB0_344
	.p2align	6
.LBB0_341:                              ;   in Loop: Header=BB0_344 Depth=1
	s_or_b32 exec_lo, exec_lo, s1
	v_readfirstlane_b32 s1, v3
	s_cmp_eq_u32 s1, 0
	s_cbranch_scc1 .LBB0_343
; %bb.342:                              ;   in Loop: Header=BB0_344 Depth=1
	s_sleep 1
	s_cbranch_execnz .LBB0_344
	s_branch .LBB0_346
	.p2align	6
.LBB0_343:
	s_branch .LBB0_346
.LBB0_344:                              ; =>This Inner Loop Header: Depth=1
	v_mov_b32_e32 v3, 1
	s_and_saveexec_b32 s1, s0
	s_cbranch_execz .LBB0_341
; %bb.345:                              ;   in Loop: Header=BB0_344 Depth=1
	global_load_dword v3, v[0:1], off offset:20 glc dlc
	s_waitcnt vmcnt(0)
	buffer_gl1_inv
	buffer_gl0_inv
	v_and_b32_e32 v3, 1, v3
	s_branch .LBB0_341
.LBB0_346:
	global_load_dwordx2 v[3:4], v[11:12], off
	s_and_saveexec_b32 s10, s0
	s_cbranch_execz .LBB0_350
; %bb.347:
	v_mov_b32_e32 v9, 0
	s_clause 0x2
	global_load_dwordx2 v[0:1], v9, s[6:7] offset:40
	global_load_dwordx2 v[12:13], v9, s[6:7] offset:24 glc dlc
	global_load_dwordx2 v[5:6], v9, s[6:7]
	s_waitcnt vmcnt(2)
	v_readfirstlane_b32 s12, v0
	v_readfirstlane_b32 s13, v1
	s_add_u32 s11, s12, 1
	s_addc_u32 s14, s13, 0
	s_add_u32 s0, s11, s8
	s_addc_u32 s1, s14, s9
	s_cmp_eq_u64 s[0:1], 0
	s_cselect_b32 s1, s14, s1
	s_cselect_b32 s0, s11, s0
	v_mov_b32_e32 v11, s1
	s_and_b64 s[8:9], s[0:1], s[12:13]
	v_mov_b32_e32 v10, s0
	s_mul_i32 s9, s9, 24
	s_mul_hi_u32 s11, s8, 24
	s_mul_i32 s8, s8, 24
	s_add_i32 s11, s11, s9
	s_waitcnt vmcnt(0)
	v_add_co_u32 v0, vcc_lo, v5, s8
	v_add_co_ci_u32_e64 v1, null, s11, v6, vcc_lo
	global_store_dwordx2 v[0:1], v[12:13], off
	s_waitcnt_vscnt null, 0x0
	global_atomic_cmpswap_x2 v[7:8], v9, v[10:13], s[6:7] offset:24 glc
	s_waitcnt vmcnt(0)
	v_cmp_ne_u64_e32 vcc_lo, v[7:8], v[12:13]
	s_and_b32 exec_lo, exec_lo, vcc_lo
	s_cbranch_execz .LBB0_350
; %bb.348:
	s_mov_b32 s8, 0
.LBB0_349:                              ; =>This Inner Loop Header: Depth=1
	v_mov_b32_e32 v5, s0
	v_mov_b32_e32 v6, s1
	s_sleep 1
	global_store_dwordx2 v[0:1], v[7:8], off
	s_waitcnt_vscnt null, 0x0
	global_atomic_cmpswap_x2 v[5:6], v9, v[5:8], s[6:7] offset:24 glc
	s_waitcnt vmcnt(0)
	v_cmp_eq_u64_e32 vcc_lo, v[5:6], v[7:8]
	v_mov_b32_e32 v8, v6
	v_mov_b32_e32 v7, v5
	s_or_b32 s8, vcc_lo, s8
	s_andn2_b32 exec_lo, exec_lo, s8
	s_cbranch_execnz .LBB0_349
.LBB0_350:
	s_or_b32 exec_lo, exec_lo, s10
	v_readfirstlane_b32 s0, v30
	v_mov_b32_e32 v0, 0
	v_mov_b32_e32 v1, 0
	v_cmp_eq_u32_e64 s0, s0, v30
	s_and_saveexec_b32 s1, s0
	s_cbranch_execz .LBB0_356
; %bb.351:
	v_mov_b32_e32 v5, 0
	s_mov_b32 s8, exec_lo
	global_load_dwordx2 v[8:9], v5, s[6:7] offset:24 glc dlc
	s_waitcnt vmcnt(0)
	buffer_gl1_inv
	buffer_gl0_inv
	s_clause 0x1
	global_load_dwordx2 v[0:1], v5, s[6:7] offset:40
	global_load_dwordx2 v[6:7], v5, s[6:7]
	s_waitcnt vmcnt(1)
	v_and_b32_e32 v1, v1, v9
	v_and_b32_e32 v0, v0, v8
	v_mul_lo_u32 v1, v1, 24
	v_mul_hi_u32 v10, v0, 24
	v_mul_lo_u32 v0, v0, 24
	v_add_nc_u32_e32 v1, v10, v1
	s_waitcnt vmcnt(0)
	v_add_co_u32 v0, vcc_lo, v6, v0
	v_add_co_ci_u32_e64 v1, null, v7, v1, vcc_lo
	global_load_dwordx2 v[6:7], v[0:1], off glc dlc
	s_waitcnt vmcnt(0)
	global_atomic_cmpswap_x2 v[0:1], v5, v[6:9], s[6:7] offset:24 glc
	s_waitcnt vmcnt(0)
	buffer_gl1_inv
	buffer_gl0_inv
	v_cmpx_ne_u64_e64 v[0:1], v[8:9]
	s_cbranch_execz .LBB0_355
; %bb.352:
	s_mov_b32 s9, 0
	.p2align	6
.LBB0_353:                              ; =>This Inner Loop Header: Depth=1
	s_sleep 1
	s_clause 0x1
	global_load_dwordx2 v[6:7], v5, s[6:7] offset:40
	global_load_dwordx2 v[10:11], v5, s[6:7]
	v_mov_b32_e32 v9, v1
	v_mov_b32_e32 v8, v0
	s_waitcnt vmcnt(1)
	v_and_b32_e32 v0, v6, v8
	v_and_b32_e32 v6, v7, v9
	s_waitcnt vmcnt(0)
	v_mad_u64_u32 v[0:1], null, v0, 24, v[10:11]
	v_mad_u64_u32 v[6:7], null, v6, 24, v[1:2]
	v_mov_b32_e32 v1, v6
	global_load_dwordx2 v[6:7], v[0:1], off glc dlc
	s_waitcnt vmcnt(0)
	global_atomic_cmpswap_x2 v[0:1], v5, v[6:9], s[6:7] offset:24 glc
	s_waitcnt vmcnt(0)
	buffer_gl1_inv
	buffer_gl0_inv
	v_cmp_eq_u64_e32 vcc_lo, v[0:1], v[8:9]
	s_or_b32 s9, vcc_lo, s9
	s_andn2_b32 exec_lo, exec_lo, s9
	s_cbranch_execnz .LBB0_353
; %bb.354:
	s_or_b32 exec_lo, exec_lo, s9
.LBB0_355:
	s_or_b32 exec_lo, exec_lo, s8
.LBB0_356:
	s_or_b32 exec_lo, exec_lo, s1
	v_mov_b32_e32 v6, 0
	v_readfirstlane_b32 s9, v1
	v_readfirstlane_b32 s8, v0
	s_mov_b32 s1, exec_lo
	s_clause 0x1
	global_load_dwordx2 v[11:12], v6, s[6:7] offset:40
	global_load_dwordx4 v[7:10], v6, s[6:7]
	s_waitcnt vmcnt(1)
	v_readfirstlane_b32 s10, v11
	v_readfirstlane_b32 s11, v12
	s_and_b64 s[10:11], s[10:11], s[8:9]
	s_mul_i32 s12, s11, 24
	s_mul_hi_u32 s13, s10, 24
	s_mul_i32 s14, s10, 24
	s_add_i32 s13, s13, s12
	s_waitcnt vmcnt(0)
	v_add_co_u32 v0, vcc_lo, v7, s14
	v_add_co_ci_u32_e64 v1, null, s13, v8, vcc_lo
	s_and_saveexec_b32 s12, s0
	s_cbranch_execz .LBB0_358
; %bb.357:
	v_mov_b32_e32 v5, s1
	v_mov_b32_e32 v12, v6
	;; [unrolled: 1-line block ×5, first 2 shown]
	global_store_dwordx4 v[0:1], v[11:14], off offset:8
.LBB0_358:
	s_or_b32 exec_lo, exec_lo, s12
	s_lshl_b64 s[10:11], s[10:11], 12
	s_mov_b32 s12, 0
	v_add_co_u32 v9, vcc_lo, v9, s10
	v_add_co_ci_u32_e64 v10, null, s11, v10, vcc_lo
	s_mov_b32 s13, s12
	s_mov_b32 s14, s12
	;; [unrolled: 1-line block ×3, first 2 shown]
	v_and_or_b32 v3, 0xffffff1d, v3, 34
	v_mov_b32_e32 v5, s20
	v_readfirstlane_b32 s10, v9
	v_readfirstlane_b32 s11, v10
	v_mov_b32_e32 v9, s12
	v_mov_b32_e32 v10, s13
	;; [unrolled: 1-line block ×4, first 2 shown]
	global_store_dwordx4 v29, v[3:6], s[10:11]
	global_store_dwordx4 v29, v[9:12], s[10:11] offset:16
	global_store_dwordx4 v29, v[9:12], s[10:11] offset:32
	;; [unrolled: 1-line block ×3, first 2 shown]
	s_and_saveexec_b32 s1, s0
	s_cbranch_execz .LBB0_366
; %bb.359:
	v_mov_b32_e32 v9, 0
	v_mov_b32_e32 v10, s8
	;; [unrolled: 1-line block ×3, first 2 shown]
	s_clause 0x1
	global_load_dwordx2 v[12:13], v9, s[6:7] offset:32 glc dlc
	global_load_dwordx2 v[3:4], v9, s[6:7] offset:40
	s_waitcnt vmcnt(0)
	v_readfirstlane_b32 s10, v3
	v_readfirstlane_b32 s11, v4
	s_and_b64 s[10:11], s[10:11], s[8:9]
	s_mul_i32 s11, s11, 24
	s_mul_hi_u32 s12, s10, 24
	s_mul_i32 s10, s10, 24
	s_add_i32 s12, s12, s11
	v_add_co_u32 v7, vcc_lo, v7, s10
	v_add_co_ci_u32_e64 v8, null, s12, v8, vcc_lo
	s_mov_b32 s10, exec_lo
	global_store_dwordx2 v[7:8], v[12:13], off
	s_waitcnt_vscnt null, 0x0
	global_atomic_cmpswap_x2 v[5:6], v9, v[10:13], s[6:7] offset:32 glc
	s_waitcnt vmcnt(0)
	v_cmpx_ne_u64_e64 v[5:6], v[12:13]
	s_cbranch_execz .LBB0_362
; %bb.360:
	s_mov_b32 s11, 0
.LBB0_361:                              ; =>This Inner Loop Header: Depth=1
	v_mov_b32_e32 v3, s8
	v_mov_b32_e32 v4, s9
	s_sleep 1
	global_store_dwordx2 v[7:8], v[5:6], off
	s_waitcnt_vscnt null, 0x0
	global_atomic_cmpswap_x2 v[3:4], v9, v[3:6], s[6:7] offset:32 glc
	s_waitcnt vmcnt(0)
	v_cmp_eq_u64_e32 vcc_lo, v[3:4], v[5:6]
	v_mov_b32_e32 v6, v4
	v_mov_b32_e32 v5, v3
	s_or_b32 s11, vcc_lo, s11
	s_andn2_b32 exec_lo, exec_lo, s11
	s_cbranch_execnz .LBB0_361
.LBB0_362:
	s_or_b32 exec_lo, exec_lo, s10
	v_mov_b32_e32 v6, 0
	s_mov_b32 s11, exec_lo
	s_mov_b32 s10, exec_lo
	v_mbcnt_lo_u32_b32 v5, s11, 0
	global_load_dwordx2 v[3:4], v6, s[6:7] offset:16
	v_cmpx_eq_u32_e32 0, v5
	s_cbranch_execz .LBB0_364
; %bb.363:
	s_bcnt1_i32_b32 s11, s11
	v_mov_b32_e32 v5, s11
	s_waitcnt vmcnt(0)
	global_atomic_add_x2 v[3:4], v[5:6], off offset:8
.LBB0_364:
	s_or_b32 exec_lo, exec_lo, s10
	s_waitcnt vmcnt(0)
	global_load_dwordx2 v[5:6], v[3:4], off offset:16
	s_waitcnt vmcnt(0)
	v_cmp_eq_u64_e32 vcc_lo, 0, v[5:6]
	s_cbranch_vccnz .LBB0_366
; %bb.365:
	global_load_dword v3, v[3:4], off offset:24
	v_mov_b32_e32 v4, 0
	s_waitcnt vmcnt(0)
	v_readfirstlane_b32 s10, v3
	s_waitcnt_vscnt null, 0x0
	global_store_dwordx2 v[5:6], v[3:4], off
	s_and_b32 m0, s10, 0x7fffff
	s_sendmsg sendmsg(MSG_INTERRUPT)
.LBB0_366:
	s_or_b32 exec_lo, exec_lo, s1
	s_branch .LBB0_370
	.p2align	6
.LBB0_367:                              ;   in Loop: Header=BB0_370 Depth=1
	s_or_b32 exec_lo, exec_lo, s1
	v_readfirstlane_b32 s1, v3
	s_cmp_eq_u32 s1, 0
	s_cbranch_scc1 .LBB0_369
; %bb.368:                              ;   in Loop: Header=BB0_370 Depth=1
	s_sleep 1
	s_cbranch_execnz .LBB0_370
	s_branch .LBB0_372
	.p2align	6
.LBB0_369:
	s_branch .LBB0_372
.LBB0_370:                              ; =>This Inner Loop Header: Depth=1
	v_mov_b32_e32 v3, 1
	s_and_saveexec_b32 s1, s0
	s_cbranch_execz .LBB0_367
; %bb.371:                              ;   in Loop: Header=BB0_370 Depth=1
	global_load_dword v3, v[0:1], off offset:20 glc dlc
	s_waitcnt vmcnt(0)
	buffer_gl1_inv
	buffer_gl0_inv
	v_and_b32_e32 v3, 1, v3
	s_branch .LBB0_367
.LBB0_372:
	s_and_b32 exec_lo, exec_lo, s0
	s_cbranch_execz .LBB0_376
; %bb.373:
	v_mov_b32_e32 v7, 0
	s_clause 0x2
	global_load_dwordx2 v[0:1], v7, s[6:7] offset:40
	global_load_dwordx2 v[10:11], v7, s[6:7] offset:24 glc dlc
	global_load_dwordx2 v[3:4], v7, s[6:7]
	s_waitcnt vmcnt(2)
	v_readfirstlane_b32 s10, v0
	v_readfirstlane_b32 s11, v1
	s_add_u32 s12, s10, 1
	s_addc_u32 s13, s11, 0
	s_add_u32 s0, s12, s8
	s_addc_u32 s1, s13, s9
	s_cmp_eq_u64 s[0:1], 0
	s_cselect_b32 s1, s13, s1
	s_cselect_b32 s0, s12, s0
	v_mov_b32_e32 v9, s1
	s_and_b64 s[8:9], s[0:1], s[10:11]
	v_mov_b32_e32 v8, s0
	s_mul_i32 s9, s9, 24
	s_mul_hi_u32 s10, s8, 24
	s_mul_i32 s8, s8, 24
	s_add_i32 s10, s10, s9
	s_waitcnt vmcnt(0)
	v_add_co_u32 v0, vcc_lo, v3, s8
	v_add_co_ci_u32_e64 v1, null, s10, v4, vcc_lo
	global_store_dwordx2 v[0:1], v[10:11], off
	s_waitcnt_vscnt null, 0x0
	global_atomic_cmpswap_x2 v[5:6], v7, v[8:11], s[6:7] offset:24 glc
	s_waitcnt vmcnt(0)
	v_cmp_ne_u64_e32 vcc_lo, v[5:6], v[10:11]
	s_and_b32 exec_lo, exec_lo, vcc_lo
	s_cbranch_execz .LBB0_376
; %bb.374:
	s_mov_b32 s8, 0
.LBB0_375:                              ; =>This Inner Loop Header: Depth=1
	v_mov_b32_e32 v3, s0
	v_mov_b32_e32 v4, s1
	s_sleep 1
	global_store_dwordx2 v[0:1], v[5:6], off
	s_waitcnt_vscnt null, 0x0
	global_atomic_cmpswap_x2 v[3:4], v7, v[3:6], s[6:7] offset:24 glc
	s_waitcnt vmcnt(0)
	v_cmp_eq_u64_e32 vcc_lo, v[3:4], v[5:6]
	v_mov_b32_e32 v6, v4
	v_mov_b32_e32 v5, v3
	s_or_b32 s8, vcc_lo, s8
	s_andn2_b32 exec_lo, exec_lo, s8
	s_cbranch_execnz .LBB0_375
.LBB0_376:
	s_or_b32 exec_lo, exec_lo, s24
	s_waitcnt lgkmcnt(0)
	s_cmp_eq_u32 s20, 0
	s_waitcnt_vscnt null, 0x0
	s_cselect_b32 s18, -1, 0
	s_barrier
	s_and_b32 vcc_lo, exec_lo, s18
	buffer_gl0_inv
	s_cbranch_vccnz .LBB0_598
; %bb.377:
	s_add_i32 s0, s20, -1
	s_mov_b32 s18, -1
	s_and_b32 s1, s20, s0
	s_cmp_eq_u32 s1, 0
	s_cselect_b32 s1, -1, 0
	s_cmp_lt_u32 s20, 33
	s_cselect_b32 s6, -1, 0
	s_and_b32 s1, s6, s1
	s_and_b32 vcc_lo, exec_lo, s1
	s_cbranch_vccz .LBB0_598
; %bb.378:
	v_cvt_f32_u32_e32 v0, s20
	s_sub_i32 s6, 0, s20
	s_add_i32 s8, s0, s23
	v_mov_b32_e32 v31, 0
	v_rcp_iflag_f32_e32 v0, v0
	v_mul_f32_e32 v0, 0x4f7ffffe, v0
	v_cvt_u32_f32_e32 v0, v0
	v_readfirstlane_b32 s1, v0
	s_mul_i32 s7, s6, s1
	s_mul_hi_u32 s7, s1, s7
	s_add_i32 s1, s1, s7
	s_mul_hi_u32 s7, s8, s1
	v_mad_u64_u32 v[28:29], null, v2, s1, 0
	s_mul_i32 s9, s7, s20
	s_mov_b32 s1, 0
	s_sub_i32 s8, s8, s9
	s_add_i32 s9, s7, 1
	s_sub_i32 s10, s8, s20
	s_cmp_ge_u32 s8, s20
	s_cselect_b32 s7, s9, s7
	s_cselect_b32 s8, s10, s8
	s_add_i32 s9, s7, 1
	s_cmp_ge_u32 s8, s20
	s_cselect_b32 s7, s9, s7
	s_mul_i32 s7, s7, s20
	s_sub_i32 s8, s7, s20
	s_sub_i32 s7, s23, s7
	v_cmp_le_u32_e32 vcc_lo, s8, v2
	v_cndmask_b32_e64 v0, 0, s7, vcc_lo
	v_add_nc_u32_e32 v34, s20, v0
	v_and_b32_e32 v0, s0, v2
	s_mov_b32 s0, exec_lo
	v_cmpx_lt_u32_e32 1, v34
	s_cbranch_execz .LBB0_384
; %bb.379:
	v_and_b32_e32 v3, s6, v2
	v_mov_b32_e32 v1, v31
	v_ashrrev_i32_e32 v4, 31, v3
	v_lshlrev_b64 v[6:7], 2, v[0:1]
	v_lshlrev_b64 v[3:4], 2, v[3:4]
	v_add_co_u32 v1, vcc_lo, s22, v3
	v_add_co_ci_u32_e64 v5, null, s21, v4, vcc_lo
	v_add_co_u32 v3, vcc_lo, v1, v6
	v_add_co_ci_u32_e64 v4, null, v5, v7, vcc_lo
	v_mov_b32_e32 v6, v34
	s_branch .LBB0_381
	.p2align	6
.LBB0_380:                              ;   in Loop: Header=BB0_381 Depth=1
	s_or_b32 exec_lo, exec_lo, s6
	v_cmp_gt_u32_e32 vcc_lo, 4, v6
	v_mov_b32_e32 v6, v7
	buffer_gl1_inv
	buffer_gl0_inv
	s_or_b32 s1, vcc_lo, s1
	s_andn2_b32 exec_lo, exec_lo, s1
	s_cbranch_execz .LBB0_383
.LBB0_381:                              ; =>This Inner Loop Header: Depth=1
	v_lshrrev_b32_e32 v7, 1, v6
	s_mov_b32 s6, exec_lo
	flat_store_dword v[3:4], v32
	s_waitcnt lgkmcnt(0)
	s_waitcnt_vscnt null, 0x0
	buffer_gl1_inv
	buffer_gl0_inv
	v_cmpx_lt_i32_e64 v0, v7
	s_cbranch_execz .LBB0_380
; %bb.382:                              ;   in Loop: Header=BB0_381 Depth=1
	v_add_nc_u32_e32 v30, v7, v0
	v_lshlrev_b64 v[8:9], 2, v[30:31]
	v_add_co_u32 v8, vcc_lo, v1, v8
	v_add_co_ci_u32_e64 v9, null, v5, v9, vcc_lo
	flat_load_dword v8, v[8:9]
	s_waitcnt vmcnt(0) lgkmcnt(0)
	v_add_nc_u32_e32 v32, v8, v32
	s_branch .LBB0_380
.LBB0_383:
	s_or_b32 exec_lo, exec_lo, s1
.LBB0_384:
	s_or_b32 exec_lo, exec_lo, s0
	v_cmp_eq_u32_e64 s0, 0, v0
	s_mov_b32 s18, 0
	s_and_saveexec_b32 s19, s0
	s_cbranch_execz .LBB0_597
; %bb.385:
	s_load_dwordx2 s[2:3], s[2:3], 0x50
	v_mbcnt_lo_u32_b32 v33, -1, 0
	v_mov_b32_e32 v0, 0
	v_mov_b32_e32 v1, 0
	v_readfirstlane_b32 s1, v33
	v_cmp_eq_u32_e64 s1, s1, v33
	s_and_saveexec_b32 s6, s1
	s_cbranch_execz .LBB0_391
; %bb.386:
	v_mov_b32_e32 v3, 0
	s_mov_b32 s7, exec_lo
	s_waitcnt lgkmcnt(0)
	global_load_dwordx2 v[6:7], v3, s[2:3] offset:24 glc dlc
	s_waitcnt vmcnt(0)
	buffer_gl1_inv
	buffer_gl0_inv
	s_clause 0x1
	global_load_dwordx2 v[0:1], v3, s[2:3] offset:40
	global_load_dwordx2 v[4:5], v3, s[2:3]
	s_waitcnt vmcnt(1)
	v_and_b32_e32 v1, v1, v7
	v_and_b32_e32 v0, v0, v6
	v_mul_lo_u32 v1, v1, 24
	v_mul_hi_u32 v8, v0, 24
	v_mul_lo_u32 v0, v0, 24
	v_add_nc_u32_e32 v1, v8, v1
	s_waitcnt vmcnt(0)
	v_add_co_u32 v0, vcc_lo, v4, v0
	v_add_co_ci_u32_e64 v1, null, v5, v1, vcc_lo
	global_load_dwordx2 v[4:5], v[0:1], off glc dlc
	s_waitcnt vmcnt(0)
	global_atomic_cmpswap_x2 v[0:1], v3, v[4:7], s[2:3] offset:24 glc
	s_waitcnt vmcnt(0)
	buffer_gl1_inv
	buffer_gl0_inv
	v_cmpx_ne_u64_e64 v[0:1], v[6:7]
	s_cbranch_execz .LBB0_390
; %bb.387:
	s_mov_b32 s8, 0
	.p2align	6
.LBB0_388:                              ; =>This Inner Loop Header: Depth=1
	s_sleep 1
	s_clause 0x1
	global_load_dwordx2 v[4:5], v3, s[2:3] offset:40
	global_load_dwordx2 v[8:9], v3, s[2:3]
	v_mov_b32_e32 v7, v1
	v_mov_b32_e32 v6, v0
	s_waitcnt vmcnt(1)
	v_and_b32_e32 v0, v4, v6
	v_and_b32_e32 v4, v5, v7
	s_waitcnt vmcnt(0)
	v_mad_u64_u32 v[0:1], null, v0, 24, v[8:9]
	v_mad_u64_u32 v[4:5], null, v4, 24, v[1:2]
	v_mov_b32_e32 v1, v4
	global_load_dwordx2 v[4:5], v[0:1], off glc dlc
	s_waitcnt vmcnt(0)
	global_atomic_cmpswap_x2 v[0:1], v3, v[4:7], s[2:3] offset:24 glc
	s_waitcnt vmcnt(0)
	buffer_gl1_inv
	buffer_gl0_inv
	v_cmp_eq_u64_e32 vcc_lo, v[0:1], v[6:7]
	s_or_b32 s8, vcc_lo, s8
	s_andn2_b32 exec_lo, exec_lo, s8
	s_cbranch_execnz .LBB0_388
; %bb.389:
	s_or_b32 exec_lo, exec_lo, s8
.LBB0_390:
	s_or_b32 exec_lo, exec_lo, s7
.LBB0_391:
	s_or_b32 exec_lo, exec_lo, s6
	v_mov_b32_e32 v8, 0
	v_readfirstlane_b32 s7, v1
	v_readfirstlane_b32 s6, v0
	s_mov_b32 s10, exec_lo
	s_waitcnt lgkmcnt(0)
	s_clause 0x1
	global_load_dwordx2 v[9:10], v8, s[2:3] offset:40
	global_load_dwordx4 v[3:6], v8, s[2:3]
	s_waitcnt vmcnt(1)
	v_readfirstlane_b32 s8, v9
	v_readfirstlane_b32 s9, v10
	s_and_b64 s[8:9], s[8:9], s[6:7]
	s_mul_i32 s11, s9, 24
	s_mul_hi_u32 s12, s8, 24
	s_mul_i32 s13, s8, 24
	s_add_i32 s12, s12, s11
	s_waitcnt vmcnt(0)
	v_add_co_u32 v0, vcc_lo, v3, s13
	v_add_co_ci_u32_e64 v1, null, s12, v4, vcc_lo
	s_and_saveexec_b32 s11, s1
	s_cbranch_execz .LBB0_393
; %bb.392:
	v_mov_b32_e32 v7, s10
	v_mov_b32_e32 v9, 2
	;; [unrolled: 1-line block ×3, first 2 shown]
	global_store_dwordx4 v[0:1], v[7:10], off offset:8
.LBB0_393:
	s_or_b32 exec_lo, exec_lo, s11
	s_lshl_b64 s[8:9], s[8:9], 12
	v_lshlrev_b32_e32 v30, 6, v33
	v_add_co_u32 v5, vcc_lo, v5, s8
	v_add_co_ci_u32_e64 v6, null, s9, v6, vcc_lo
	s_mov_b32 s8, 0
	v_add_co_u32 v11, vcc_lo, v5, v30
	s_mov_b32 s11, s8
	s_mov_b32 s9, s8
	;; [unrolled: 1-line block ×3, first 2 shown]
	v_mov_b32_e32 v7, 33
	v_mov_b32_e32 v9, v8
	;; [unrolled: 1-line block ×3, first 2 shown]
	v_readfirstlane_b32 s12, v5
	v_readfirstlane_b32 s13, v6
	v_mov_b32_e32 v16, s11
	v_add_co_ci_u32_e64 v12, null, 0, v6, vcc_lo
	v_mov_b32_e32 v15, s10
	v_mov_b32_e32 v14, s9
	;; [unrolled: 1-line block ×3, first 2 shown]
	global_store_dwordx4 v30, v[7:10], s[12:13]
	global_store_dwordx4 v30, v[13:16], s[12:13] offset:16
	global_store_dwordx4 v30, v[13:16], s[12:13] offset:32
	;; [unrolled: 1-line block ×3, first 2 shown]
	s_and_saveexec_b32 s8, s1
	s_cbranch_execz .LBB0_401
; %bb.394:
	v_mov_b32_e32 v9, 0
	v_mov_b32_e32 v13, s6
	;; [unrolled: 1-line block ×3, first 2 shown]
	s_mov_b32 s9, exec_lo
	s_clause 0x1
	global_load_dwordx2 v[15:16], v9, s[2:3] offset:32 glc dlc
	global_load_dwordx2 v[5:6], v9, s[2:3] offset:40
	s_waitcnt vmcnt(0)
	v_and_b32_e32 v6, s7, v6
	v_and_b32_e32 v5, s6, v5
	v_mul_lo_u32 v6, v6, 24
	v_mul_hi_u32 v7, v5, 24
	v_mul_lo_u32 v5, v5, 24
	v_add_nc_u32_e32 v6, v7, v6
	v_add_co_u32 v7, vcc_lo, v3, v5
	v_add_co_ci_u32_e64 v8, null, v4, v6, vcc_lo
	global_store_dwordx2 v[7:8], v[15:16], off
	s_waitcnt_vscnt null, 0x0
	global_atomic_cmpswap_x2 v[5:6], v9, v[13:16], s[2:3] offset:32 glc
	s_waitcnt vmcnt(0)
	v_cmpx_ne_u64_e64 v[5:6], v[15:16]
	s_cbranch_execz .LBB0_397
; %bb.395:
	s_mov_b32 s10, 0
.LBB0_396:                              ; =>This Inner Loop Header: Depth=1
	v_mov_b32_e32 v3, s6
	v_mov_b32_e32 v4, s7
	s_sleep 1
	global_store_dwordx2 v[7:8], v[5:6], off
	s_waitcnt_vscnt null, 0x0
	global_atomic_cmpswap_x2 v[3:4], v9, v[3:6], s[2:3] offset:32 glc
	s_waitcnt vmcnt(0)
	v_cmp_eq_u64_e32 vcc_lo, v[3:4], v[5:6]
	v_mov_b32_e32 v6, v4
	v_mov_b32_e32 v5, v3
	s_or_b32 s10, vcc_lo, s10
	s_andn2_b32 exec_lo, exec_lo, s10
	s_cbranch_execnz .LBB0_396
.LBB0_397:
	s_or_b32 exec_lo, exec_lo, s9
	v_mov_b32_e32 v6, 0
	s_mov_b32 s10, exec_lo
	s_mov_b32 s9, exec_lo
	v_mbcnt_lo_u32_b32 v5, s10, 0
	global_load_dwordx2 v[3:4], v6, s[2:3] offset:16
	v_cmpx_eq_u32_e32 0, v5
	s_cbranch_execz .LBB0_399
; %bb.398:
	s_bcnt1_i32_b32 s10, s10
	v_mov_b32_e32 v5, s10
	s_waitcnt vmcnt(0)
	global_atomic_add_x2 v[3:4], v[5:6], off offset:8
.LBB0_399:
	s_or_b32 exec_lo, exec_lo, s9
	s_waitcnt vmcnt(0)
	global_load_dwordx2 v[5:6], v[3:4], off offset:16
	s_waitcnt vmcnt(0)
	v_cmp_eq_u64_e32 vcc_lo, 0, v[5:6]
	s_cbranch_vccnz .LBB0_401
; %bb.400:
	global_load_dword v3, v[3:4], off offset:24
	v_mov_b32_e32 v4, 0
	s_waitcnt vmcnt(0)
	v_readfirstlane_b32 s9, v3
	s_waitcnt_vscnt null, 0x0
	global_store_dwordx2 v[5:6], v[3:4], off
	s_and_b32 m0, s9, 0x7fffff
	s_sendmsg sendmsg(MSG_INTERRUPT)
.LBB0_401:
	s_or_b32 exec_lo, exec_lo, s8
	s_branch .LBB0_405
	.p2align	6
.LBB0_402:                              ;   in Loop: Header=BB0_405 Depth=1
	s_or_b32 exec_lo, exec_lo, s8
	v_readfirstlane_b32 s8, v3
	s_cmp_eq_u32 s8, 0
	s_cbranch_scc1 .LBB0_404
; %bb.403:                              ;   in Loop: Header=BB0_405 Depth=1
	s_sleep 1
	s_cbranch_execnz .LBB0_405
	s_branch .LBB0_407
	.p2align	6
.LBB0_404:
	s_branch .LBB0_407
.LBB0_405:                              ; =>This Inner Loop Header: Depth=1
	v_mov_b32_e32 v3, 1
	s_and_saveexec_b32 s8, s1
	s_cbranch_execz .LBB0_402
; %bb.406:                              ;   in Loop: Header=BB0_405 Depth=1
	global_load_dword v3, v[0:1], off offset:20 glc dlc
	s_waitcnt vmcnt(0)
	buffer_gl1_inv
	buffer_gl0_inv
	v_and_b32_e32 v3, 1, v3
	s_branch .LBB0_402
.LBB0_407:
	global_load_dwordx2 v[3:4], v[11:12], off
	s_and_saveexec_b32 s8, s1
	s_cbranch_execz .LBB0_411
; %bb.408:
	v_mov_b32_e32 v9, 0
	s_clause 0x2
	global_load_dwordx2 v[0:1], v9, s[2:3] offset:40
	global_load_dwordx2 v[12:13], v9, s[2:3] offset:24 glc dlc
	global_load_dwordx2 v[5:6], v9, s[2:3]
	s_waitcnt vmcnt(2)
	v_readfirstlane_b32 s10, v0
	v_readfirstlane_b32 s11, v1
	s_add_u32 s1, s10, 1
	s_addc_u32 s9, s11, 0
	s_add_u32 s6, s1, s6
	s_addc_u32 s7, s9, s7
	s_cmp_eq_u64 s[6:7], 0
	s_cselect_b32 s7, s9, s7
	s_cselect_b32 s6, s1, s6
	v_mov_b32_e32 v11, s7
	s_and_b64 s[10:11], s[6:7], s[10:11]
	v_mov_b32_e32 v10, s6
	s_mul_i32 s1, s11, 24
	s_mul_hi_u32 s9, s10, 24
	s_mul_i32 s10, s10, 24
	s_add_i32 s9, s9, s1
	s_waitcnt vmcnt(0)
	v_add_co_u32 v0, vcc_lo, v5, s10
	v_add_co_ci_u32_e64 v1, null, s9, v6, vcc_lo
	global_store_dwordx2 v[0:1], v[12:13], off
	s_waitcnt_vscnt null, 0x0
	global_atomic_cmpswap_x2 v[7:8], v9, v[10:13], s[2:3] offset:24 glc
	s_waitcnt vmcnt(0)
	v_cmp_ne_u64_e32 vcc_lo, v[7:8], v[12:13]
	s_and_b32 exec_lo, exec_lo, vcc_lo
	s_cbranch_execz .LBB0_411
; %bb.409:
	s_mov_b32 s1, 0
.LBB0_410:                              ; =>This Inner Loop Header: Depth=1
	v_mov_b32_e32 v5, s6
	v_mov_b32_e32 v6, s7
	s_sleep 1
	global_store_dwordx2 v[0:1], v[7:8], off
	s_waitcnt_vscnt null, 0x0
	global_atomic_cmpswap_x2 v[5:6], v9, v[5:8], s[2:3] offset:24 glc
	s_waitcnt vmcnt(0)
	v_cmp_eq_u64_e32 vcc_lo, v[5:6], v[7:8]
	v_mov_b32_e32 v8, v6
	v_mov_b32_e32 v7, v5
	s_or_b32 s1, vcc_lo, s1
	s_andn2_b32 exec_lo, exec_lo, s1
	s_cbranch_execnz .LBB0_410
.LBB0_411:
	s_or_b32 exec_lo, exec_lo, s8
	s_getpc_b64 s[6:7]
	s_add_u32 s6, s6, .str.2@rel32@lo+4
	s_addc_u32 s7, s7, .str.2@rel32@hi+12
	s_cmp_lg_u64 s[6:7], 0
	s_cbranch_scc0 .LBB0_490
; %bb.412:
	s_waitcnt vmcnt(0)
	v_and_b32_e32 v35, 2, v3
	v_mov_b32_e32 v10, 0
	v_and_b32_e32 v5, -3, v3
	v_mov_b32_e32 v6, v4
	v_mov_b32_e32 v11, 2
	;; [unrolled: 1-line block ×3, first 2 shown]
	s_mov_b64 s[8:9], 0x64
	s_branch .LBB0_414
.LBB0_413:                              ;   in Loop: Header=BB0_414 Depth=1
	s_or_b32 exec_lo, exec_lo, s14
	s_sub_u32 s8, s8, s10
	s_subb_u32 s9, s9, s11
	s_add_u32 s6, s6, s10
	s_addc_u32 s7, s7, s11
	s_cmp_lg_u64 s[8:9], 0
	s_cbranch_scc0 .LBB0_489
.LBB0_414:                              ; =>This Loop Header: Depth=1
                                        ;     Child Loop BB0_417 Depth 2
                                        ;     Child Loop BB0_424 Depth 2
	;; [unrolled: 1-line block ×11, first 2 shown]
	v_cmp_lt_u64_e64 s1, s[8:9], 56
	v_cmp_gt_u64_e64 s14, s[8:9], 7
	s_and_b32 s1, s1, exec_lo
	s_cselect_b32 s11, s9, 0
	s_cselect_b32 s10, s8, 56
	s_add_u32 s12, s6, 8
	s_addc_u32 s13, s7, 0
	s_and_b32 vcc_lo, exec_lo, s14
	s_cbranch_vccnz .LBB0_419
; %bb.415:                              ;   in Loop: Header=BB0_414 Depth=1
	v_mov_b32_e32 v7, 0
	v_mov_b32_e32 v8, 0
	s_cmp_eq_u64 s[8:9], 0
	s_cbranch_scc1 .LBB0_418
; %bb.416:                              ;   in Loop: Header=BB0_414 Depth=1
	s_lshl_b64 s[12:13], s[10:11], 3
	s_mov_b64 s[14:15], 0
	s_mov_b64 s[16:17], s[6:7]
.LBB0_417:                              ;   Parent Loop BB0_414 Depth=1
                                        ; =>  This Inner Loop Header: Depth=2
	global_load_ubyte v0, v10, s[16:17]
	s_waitcnt vmcnt(0)
	v_and_b32_e32 v9, 0xffff, v0
	v_lshlrev_b64 v[0:1], s14, v[9:10]
	s_add_u32 s14, s14, 8
	s_addc_u32 s15, s15, 0
	s_add_u32 s16, s16, 1
	s_addc_u32 s17, s17, 0
	s_cmp_lg_u32 s12, s14
	v_or_b32_e32 v7, v0, v7
	v_or_b32_e32 v8, v1, v8
	s_cbranch_scc1 .LBB0_417
.LBB0_418:                              ;   in Loop: Header=BB0_414 Depth=1
	s_mov_b64 s[12:13], s[6:7]
	s_mov_b32 s1, 0
	s_cbranch_execz .LBB0_420
	s_branch .LBB0_421
.LBB0_419:                              ;   in Loop: Header=BB0_414 Depth=1
	s_mov_b32 s1, 0
.LBB0_420:                              ;   in Loop: Header=BB0_414 Depth=1
	global_load_dwordx2 v[7:8], v10, s[6:7]
	s_add_i32 s1, s10, -8
.LBB0_421:                              ;   in Loop: Header=BB0_414 Depth=1
	s_add_u32 s14, s12, 8
	s_addc_u32 s15, s13, 0
	s_cmp_gt_u32 s1, 7
	s_cbranch_scc1 .LBB0_426
; %bb.422:                              ;   in Loop: Header=BB0_414 Depth=1
	v_mov_b32_e32 v13, 0
	v_mov_b32_e32 v14, 0
	s_cmp_eq_u32 s1, 0
	s_cbranch_scc1 .LBB0_425
; %bb.423:                              ;   in Loop: Header=BB0_414 Depth=1
	s_mov_b64 s[14:15], 0
	s_mov_b64 s[16:17], 0
.LBB0_424:                              ;   Parent Loop BB0_414 Depth=1
                                        ; =>  This Inner Loop Header: Depth=2
	s_add_u32 s22, s12, s16
	s_addc_u32 s23, s13, s17
	s_add_u32 s16, s16, 1
	global_load_ubyte v0, v10, s[22:23]
	s_addc_u32 s17, s17, 0
	s_waitcnt vmcnt(0)
	v_and_b32_e32 v9, 0xffff, v0
	v_lshlrev_b64 v[0:1], s14, v[9:10]
	s_add_u32 s14, s14, 8
	s_addc_u32 s15, s15, 0
	s_cmp_lg_u32 s1, s16
	v_or_b32_e32 v13, v0, v13
	v_or_b32_e32 v14, v1, v14
	s_cbranch_scc1 .LBB0_424
.LBB0_425:                              ;   in Loop: Header=BB0_414 Depth=1
	s_mov_b64 s[14:15], s[12:13]
	s_mov_b32 s21, 0
	s_cbranch_execz .LBB0_427
	s_branch .LBB0_428
.LBB0_426:                              ;   in Loop: Header=BB0_414 Depth=1
                                        ; implicit-def: $vgpr13_vgpr14
	s_mov_b32 s21, 0
.LBB0_427:                              ;   in Loop: Header=BB0_414 Depth=1
	global_load_dwordx2 v[13:14], v10, s[12:13]
	s_add_i32 s21, s1, -8
.LBB0_428:                              ;   in Loop: Header=BB0_414 Depth=1
	s_add_u32 s12, s14, 8
	s_addc_u32 s13, s15, 0
	s_cmp_gt_u32 s21, 7
	s_cbranch_scc1 .LBB0_433
; %bb.429:                              ;   in Loop: Header=BB0_414 Depth=1
	v_mov_b32_e32 v15, 0
	v_mov_b32_e32 v16, 0
	s_cmp_eq_u32 s21, 0
	s_cbranch_scc1 .LBB0_432
; %bb.430:                              ;   in Loop: Header=BB0_414 Depth=1
	s_mov_b64 s[12:13], 0
	s_mov_b64 s[16:17], 0
.LBB0_431:                              ;   Parent Loop BB0_414 Depth=1
                                        ; =>  This Inner Loop Header: Depth=2
	s_add_u32 s22, s14, s16
	s_addc_u32 s23, s15, s17
	s_add_u32 s16, s16, 1
	global_load_ubyte v0, v10, s[22:23]
	s_addc_u32 s17, s17, 0
	s_waitcnt vmcnt(0)
	v_and_b32_e32 v9, 0xffff, v0
	v_lshlrev_b64 v[0:1], s12, v[9:10]
	s_add_u32 s12, s12, 8
	s_addc_u32 s13, s13, 0
	s_cmp_lg_u32 s21, s16
	v_or_b32_e32 v15, v0, v15
	v_or_b32_e32 v16, v1, v16
	s_cbranch_scc1 .LBB0_431
.LBB0_432:                              ;   in Loop: Header=BB0_414 Depth=1
	s_mov_b64 s[12:13], s[14:15]
	s_mov_b32 s1, 0
	s_cbranch_execz .LBB0_434
	s_branch .LBB0_435
.LBB0_433:                              ;   in Loop: Header=BB0_414 Depth=1
	s_mov_b32 s1, 0
.LBB0_434:                              ;   in Loop: Header=BB0_414 Depth=1
	global_load_dwordx2 v[15:16], v10, s[14:15]
	s_add_i32 s1, s21, -8
.LBB0_435:                              ;   in Loop: Header=BB0_414 Depth=1
	s_add_u32 s14, s12, 8
	s_addc_u32 s15, s13, 0
	s_cmp_gt_u32 s1, 7
	s_cbranch_scc1 .LBB0_440
; %bb.436:                              ;   in Loop: Header=BB0_414 Depth=1
	v_mov_b32_e32 v17, 0
	v_mov_b32_e32 v18, 0
	s_cmp_eq_u32 s1, 0
	s_cbranch_scc1 .LBB0_439
; %bb.437:                              ;   in Loop: Header=BB0_414 Depth=1
	s_mov_b64 s[14:15], 0
	s_mov_b64 s[16:17], 0
.LBB0_438:                              ;   Parent Loop BB0_414 Depth=1
                                        ; =>  This Inner Loop Header: Depth=2
	s_add_u32 s22, s12, s16
	s_addc_u32 s23, s13, s17
	s_add_u32 s16, s16, 1
	global_load_ubyte v0, v10, s[22:23]
	s_addc_u32 s17, s17, 0
	s_waitcnt vmcnt(0)
	v_and_b32_e32 v9, 0xffff, v0
	v_lshlrev_b64 v[0:1], s14, v[9:10]
	s_add_u32 s14, s14, 8
	s_addc_u32 s15, s15, 0
	s_cmp_lg_u32 s1, s16
	v_or_b32_e32 v17, v0, v17
	v_or_b32_e32 v18, v1, v18
	s_cbranch_scc1 .LBB0_438
.LBB0_439:                              ;   in Loop: Header=BB0_414 Depth=1
	s_mov_b64 s[14:15], s[12:13]
	s_mov_b32 s21, 0
	s_cbranch_execz .LBB0_441
	s_branch .LBB0_442
.LBB0_440:                              ;   in Loop: Header=BB0_414 Depth=1
                                        ; implicit-def: $vgpr17_vgpr18
	s_mov_b32 s21, 0
.LBB0_441:                              ;   in Loop: Header=BB0_414 Depth=1
	global_load_dwordx2 v[17:18], v10, s[12:13]
	s_add_i32 s21, s1, -8
.LBB0_442:                              ;   in Loop: Header=BB0_414 Depth=1
	s_add_u32 s12, s14, 8
	s_addc_u32 s13, s15, 0
	s_cmp_gt_u32 s21, 7
	s_cbranch_scc1 .LBB0_447
; %bb.443:                              ;   in Loop: Header=BB0_414 Depth=1
	v_mov_b32_e32 v19, 0
	v_mov_b32_e32 v20, 0
	s_cmp_eq_u32 s21, 0
	s_cbranch_scc1 .LBB0_446
; %bb.444:                              ;   in Loop: Header=BB0_414 Depth=1
	s_mov_b64 s[12:13], 0
	s_mov_b64 s[16:17], 0
.LBB0_445:                              ;   Parent Loop BB0_414 Depth=1
                                        ; =>  This Inner Loop Header: Depth=2
	s_add_u32 s22, s14, s16
	s_addc_u32 s23, s15, s17
	s_add_u32 s16, s16, 1
	global_load_ubyte v0, v10, s[22:23]
	s_addc_u32 s17, s17, 0
	s_waitcnt vmcnt(0)
	v_and_b32_e32 v9, 0xffff, v0
	v_lshlrev_b64 v[0:1], s12, v[9:10]
	s_add_u32 s12, s12, 8
	s_addc_u32 s13, s13, 0
	s_cmp_lg_u32 s21, s16
	v_or_b32_e32 v19, v0, v19
	v_or_b32_e32 v20, v1, v20
	s_cbranch_scc1 .LBB0_445
.LBB0_446:                              ;   in Loop: Header=BB0_414 Depth=1
	s_mov_b64 s[12:13], s[14:15]
	s_mov_b32 s1, 0
	s_cbranch_execz .LBB0_448
	s_branch .LBB0_449
.LBB0_447:                              ;   in Loop: Header=BB0_414 Depth=1
	s_mov_b32 s1, 0
.LBB0_448:                              ;   in Loop: Header=BB0_414 Depth=1
	global_load_dwordx2 v[19:20], v10, s[14:15]
	s_add_i32 s1, s21, -8
.LBB0_449:                              ;   in Loop: Header=BB0_414 Depth=1
	s_add_u32 s14, s12, 8
	s_addc_u32 s15, s13, 0
	s_cmp_gt_u32 s1, 7
	s_cbranch_scc1 .LBB0_454
; %bb.450:                              ;   in Loop: Header=BB0_414 Depth=1
	v_mov_b32_e32 v21, 0
	v_mov_b32_e32 v22, 0
	s_cmp_eq_u32 s1, 0
	s_cbranch_scc1 .LBB0_453
; %bb.451:                              ;   in Loop: Header=BB0_414 Depth=1
	s_mov_b64 s[14:15], 0
	s_mov_b64 s[16:17], 0
.LBB0_452:                              ;   Parent Loop BB0_414 Depth=1
                                        ; =>  This Inner Loop Header: Depth=2
	s_add_u32 s22, s12, s16
	s_addc_u32 s23, s13, s17
	s_add_u32 s16, s16, 1
	global_load_ubyte v0, v10, s[22:23]
	s_addc_u32 s17, s17, 0
	s_waitcnt vmcnt(0)
	v_and_b32_e32 v9, 0xffff, v0
	v_lshlrev_b64 v[0:1], s14, v[9:10]
	s_add_u32 s14, s14, 8
	s_addc_u32 s15, s15, 0
	s_cmp_lg_u32 s1, s16
	v_or_b32_e32 v21, v0, v21
	v_or_b32_e32 v22, v1, v22
	s_cbranch_scc1 .LBB0_452
.LBB0_453:                              ;   in Loop: Header=BB0_414 Depth=1
	s_mov_b64 s[14:15], s[12:13]
	s_mov_b32 s21, 0
	s_cbranch_execz .LBB0_455
	s_branch .LBB0_456
.LBB0_454:                              ;   in Loop: Header=BB0_414 Depth=1
                                        ; implicit-def: $vgpr21_vgpr22
	s_mov_b32 s21, 0
.LBB0_455:                              ;   in Loop: Header=BB0_414 Depth=1
	global_load_dwordx2 v[21:22], v10, s[12:13]
	s_add_i32 s21, s1, -8
.LBB0_456:                              ;   in Loop: Header=BB0_414 Depth=1
	s_cmp_gt_u32 s21, 7
	s_cbranch_scc1 .LBB0_461
; %bb.457:                              ;   in Loop: Header=BB0_414 Depth=1
	v_mov_b32_e32 v23, 0
	v_mov_b32_e32 v24, 0
	s_cmp_eq_u32 s21, 0
	s_cbranch_scc1 .LBB0_460
; %bb.458:                              ;   in Loop: Header=BB0_414 Depth=1
	s_mov_b64 s[12:13], 0
	s_mov_b64 s[16:17], s[14:15]
.LBB0_459:                              ;   Parent Loop BB0_414 Depth=1
                                        ; =>  This Inner Loop Header: Depth=2
	global_load_ubyte v0, v10, s[16:17]
	s_add_i32 s21, s21, -1
	s_waitcnt vmcnt(0)
	v_and_b32_e32 v9, 0xffff, v0
	v_lshlrev_b64 v[0:1], s12, v[9:10]
	s_add_u32 s12, s12, 8
	s_addc_u32 s13, s13, 0
	s_add_u32 s16, s16, 1
	s_addc_u32 s17, s17, 0
	s_cmp_lg_u32 s21, 0
	v_or_b32_e32 v23, v0, v23
	v_or_b32_e32 v24, v1, v24
	s_cbranch_scc1 .LBB0_459
.LBB0_460:                              ;   in Loop: Header=BB0_414 Depth=1
	s_cbranch_execz .LBB0_462
	s_branch .LBB0_463
.LBB0_461:                              ;   in Loop: Header=BB0_414 Depth=1
.LBB0_462:                              ;   in Loop: Header=BB0_414 Depth=1
	global_load_dwordx2 v[23:24], v10, s[14:15]
.LBB0_463:                              ;   in Loop: Header=BB0_414 Depth=1
	v_readfirstlane_b32 s1, v33
	v_mov_b32_e32 v0, 0
	v_mov_b32_e32 v1, 0
	v_cmp_eq_u32_e64 s1, s1, v33
	s_and_saveexec_b32 s12, s1
	s_cbranch_execz .LBB0_469
; %bb.464:                              ;   in Loop: Header=BB0_414 Depth=1
	global_load_dwordx2 v[27:28], v10, s[2:3] offset:24 glc dlc
	s_waitcnt vmcnt(0)
	buffer_gl1_inv
	buffer_gl0_inv
	s_clause 0x1
	global_load_dwordx2 v[0:1], v10, s[2:3] offset:40
	global_load_dwordx2 v[25:26], v10, s[2:3]
	s_mov_b32 s13, exec_lo
	s_waitcnt vmcnt(1)
	v_and_b32_e32 v1, v1, v28
	v_and_b32_e32 v0, v0, v27
	v_mul_lo_u32 v1, v1, 24
	v_mul_hi_u32 v9, v0, 24
	v_mul_lo_u32 v0, v0, 24
	v_add_nc_u32_e32 v1, v9, v1
	s_waitcnt vmcnt(0)
	v_add_co_u32 v0, vcc_lo, v25, v0
	v_add_co_ci_u32_e64 v1, null, v26, v1, vcc_lo
	global_load_dwordx2 v[25:26], v[0:1], off glc dlc
	s_waitcnt vmcnt(0)
	global_atomic_cmpswap_x2 v[0:1], v10, v[25:28], s[2:3] offset:24 glc
	s_waitcnt vmcnt(0)
	buffer_gl1_inv
	buffer_gl0_inv
	v_cmpx_ne_u64_e64 v[0:1], v[27:28]
	s_cbranch_execz .LBB0_468
; %bb.465:                              ;   in Loop: Header=BB0_414 Depth=1
	s_mov_b32 s14, 0
	.p2align	6
.LBB0_466:                              ;   Parent Loop BB0_414 Depth=1
                                        ; =>  This Inner Loop Header: Depth=2
	s_sleep 1
	s_clause 0x1
	global_load_dwordx2 v[25:26], v10, s[2:3] offset:40
	global_load_dwordx2 v[36:37], v10, s[2:3]
	v_mov_b32_e32 v28, v1
	v_mov_b32_e32 v27, v0
	s_waitcnt vmcnt(1)
	v_and_b32_e32 v0, v25, v27
	v_and_b32_e32 v9, v26, v28
	s_waitcnt vmcnt(0)
	v_mad_u64_u32 v[0:1], null, v0, 24, v[36:37]
	v_mad_u64_u32 v[25:26], null, v9, 24, v[1:2]
	v_mov_b32_e32 v1, v25
	global_load_dwordx2 v[25:26], v[0:1], off glc dlc
	s_waitcnt vmcnt(0)
	global_atomic_cmpswap_x2 v[0:1], v10, v[25:28], s[2:3] offset:24 glc
	s_waitcnt vmcnt(0)
	buffer_gl1_inv
	buffer_gl0_inv
	v_cmp_eq_u64_e32 vcc_lo, v[0:1], v[27:28]
	s_or_b32 s14, vcc_lo, s14
	s_andn2_b32 exec_lo, exec_lo, s14
	s_cbranch_execnz .LBB0_466
; %bb.467:                              ;   in Loop: Header=BB0_414 Depth=1
	s_or_b32 exec_lo, exec_lo, s14
.LBB0_468:                              ;   in Loop: Header=BB0_414 Depth=1
	s_or_b32 exec_lo, exec_lo, s13
.LBB0_469:                              ;   in Loop: Header=BB0_414 Depth=1
	s_or_b32 exec_lo, exec_lo, s12
	s_clause 0x1
	global_load_dwordx2 v[36:37], v10, s[2:3] offset:40
	global_load_dwordx4 v[25:28], v10, s[2:3]
	v_readfirstlane_b32 s13, v1
	v_readfirstlane_b32 s12, v0
	s_mov_b32 s16, exec_lo
	s_waitcnt vmcnt(1)
	v_readfirstlane_b32 s14, v36
	v_readfirstlane_b32 s15, v37
	s_and_b64 s[14:15], s[14:15], s[12:13]
	s_mul_i32 s17, s15, 24
	s_mul_hi_u32 s21, s14, 24
	s_mul_i32 s22, s14, 24
	s_add_i32 s21, s21, s17
	s_waitcnt vmcnt(0)
	v_add_co_u32 v0, vcc_lo, v25, s22
	v_add_co_ci_u32_e64 v1, null, s21, v26, vcc_lo
	s_and_saveexec_b32 s17, s1
	s_cbranch_execz .LBB0_471
; %bb.470:                              ;   in Loop: Header=BB0_414 Depth=1
	v_mov_b32_e32 v9, s16
	global_store_dwordx4 v[0:1], v[9:12], off offset:8
.LBB0_471:                              ;   in Loop: Header=BB0_414 Depth=1
	s_or_b32 exec_lo, exec_lo, s17
	v_cmp_lt_u64_e64 vcc_lo, s[8:9], 57
	s_lshl_b64 s[14:15], s[14:15], 12
	v_and_b32_e32 v5, 0xffffff1f, v5
	v_cndmask_b32_e32 v9, 0, v35, vcc_lo
	v_add_co_u32 v27, vcc_lo, v27, s14
	v_add_co_ci_u32_e64 v28, null, s15, v28, vcc_lo
	v_or_b32_e32 v5, v5, v9
	s_lshl_b32 s14, s10, 2
	s_add_i32 s16, s14, 28
	v_readfirstlane_b32 s14, v27
	v_readfirstlane_b32 s15, v28
	v_and_or_b32 v5, 0x1e0, s16, v5
	global_store_dwordx4 v30, v[13:16], s[14:15] offset:16
	global_store_dwordx4 v30, v[5:8], s[14:15]
	global_store_dwordx4 v30, v[17:20], s[14:15] offset:32
	global_store_dwordx4 v30, v[21:24], s[14:15] offset:48
	s_and_saveexec_b32 s14, s1
	s_cbranch_execz .LBB0_479
; %bb.472:                              ;   in Loop: Header=BB0_414 Depth=1
	s_clause 0x1
	global_load_dwordx2 v[17:18], v10, s[2:3] offset:32 glc dlc
	global_load_dwordx2 v[5:6], v10, s[2:3] offset:40
	v_mov_b32_e32 v15, s12
	v_mov_b32_e32 v16, s13
	s_waitcnt vmcnt(0)
	v_readfirstlane_b32 s16, v5
	v_readfirstlane_b32 s17, v6
	s_and_b64 s[16:17], s[16:17], s[12:13]
	s_mul_i32 s15, s17, 24
	s_mul_hi_u32 s17, s16, 24
	s_mul_i32 s16, s16, 24
	s_add_i32 s17, s17, s15
	v_add_co_u32 v13, vcc_lo, v25, s16
	v_add_co_ci_u32_e64 v14, null, s17, v26, vcc_lo
	s_mov_b32 s15, exec_lo
	global_store_dwordx2 v[13:14], v[17:18], off
	s_waitcnt_vscnt null, 0x0
	global_atomic_cmpswap_x2 v[7:8], v10, v[15:18], s[2:3] offset:32 glc
	s_waitcnt vmcnt(0)
	v_cmpx_ne_u64_e64 v[7:8], v[17:18]
	s_cbranch_execz .LBB0_475
; %bb.473:                              ;   in Loop: Header=BB0_414 Depth=1
	s_mov_b32 s16, 0
.LBB0_474:                              ;   Parent Loop BB0_414 Depth=1
                                        ; =>  This Inner Loop Header: Depth=2
	v_mov_b32_e32 v5, s12
	v_mov_b32_e32 v6, s13
	s_sleep 1
	global_store_dwordx2 v[13:14], v[7:8], off
	s_waitcnt_vscnt null, 0x0
	global_atomic_cmpswap_x2 v[5:6], v10, v[5:8], s[2:3] offset:32 glc
	s_waitcnt vmcnt(0)
	v_cmp_eq_u64_e32 vcc_lo, v[5:6], v[7:8]
	v_mov_b32_e32 v8, v6
	v_mov_b32_e32 v7, v5
	s_or_b32 s16, vcc_lo, s16
	s_andn2_b32 exec_lo, exec_lo, s16
	s_cbranch_execnz .LBB0_474
.LBB0_475:                              ;   in Loop: Header=BB0_414 Depth=1
	s_or_b32 exec_lo, exec_lo, s15
	global_load_dwordx2 v[5:6], v10, s[2:3] offset:16
	s_mov_b32 s16, exec_lo
	s_mov_b32 s15, exec_lo
	v_mbcnt_lo_u32_b32 v7, s16, 0
	v_cmpx_eq_u32_e32 0, v7
	s_cbranch_execz .LBB0_477
; %bb.476:                              ;   in Loop: Header=BB0_414 Depth=1
	s_bcnt1_i32_b32 s16, s16
	v_mov_b32_e32 v9, s16
	s_waitcnt vmcnt(0)
	global_atomic_add_x2 v[5:6], v[9:10], off offset:8
.LBB0_477:                              ;   in Loop: Header=BB0_414 Depth=1
	s_or_b32 exec_lo, exec_lo, s15
	s_waitcnt vmcnt(0)
	global_load_dwordx2 v[7:8], v[5:6], off offset:16
	s_waitcnt vmcnt(0)
	v_cmp_eq_u64_e32 vcc_lo, 0, v[7:8]
	s_cbranch_vccnz .LBB0_479
; %bb.478:                              ;   in Loop: Header=BB0_414 Depth=1
	global_load_dword v9, v[5:6], off offset:24
	s_waitcnt vmcnt(0)
	v_readfirstlane_b32 s15, v9
	s_waitcnt_vscnt null, 0x0
	global_store_dwordx2 v[7:8], v[9:10], off
	s_and_b32 m0, s15, 0x7fffff
	s_sendmsg sendmsg(MSG_INTERRUPT)
.LBB0_479:                              ;   in Loop: Header=BB0_414 Depth=1
	s_or_b32 exec_lo, exec_lo, s14
	v_add_co_u32 v5, vcc_lo, v27, v30
	v_add_co_ci_u32_e64 v6, null, 0, v28, vcc_lo
	s_branch .LBB0_483
	.p2align	6
.LBB0_480:                              ;   in Loop: Header=BB0_483 Depth=2
	s_or_b32 exec_lo, exec_lo, s14
	v_readfirstlane_b32 s14, v7
	s_cmp_eq_u32 s14, 0
	s_cbranch_scc1 .LBB0_482
; %bb.481:                              ;   in Loop: Header=BB0_483 Depth=2
	s_sleep 1
	s_cbranch_execnz .LBB0_483
	s_branch .LBB0_485
	.p2align	6
.LBB0_482:                              ;   in Loop: Header=BB0_414 Depth=1
	s_branch .LBB0_485
.LBB0_483:                              ;   Parent Loop BB0_414 Depth=1
                                        ; =>  This Inner Loop Header: Depth=2
	v_mov_b32_e32 v7, 1
	s_and_saveexec_b32 s14, s1
	s_cbranch_execz .LBB0_480
; %bb.484:                              ;   in Loop: Header=BB0_483 Depth=2
	global_load_dword v7, v[0:1], off offset:20 glc dlc
	s_waitcnt vmcnt(0)
	buffer_gl1_inv
	buffer_gl0_inv
	v_and_b32_e32 v7, 1, v7
	s_branch .LBB0_480
.LBB0_485:                              ;   in Loop: Header=BB0_414 Depth=1
	global_load_dwordx2 v[5:6], v[5:6], off
	s_and_saveexec_b32 s14, s1
	s_cbranch_execz .LBB0_413
; %bb.486:                              ;   in Loop: Header=BB0_414 Depth=1
	s_clause 0x2
	global_load_dwordx2 v[0:1], v10, s[2:3] offset:40
	global_load_dwordx2 v[17:18], v10, s[2:3] offset:24 glc dlc
	global_load_dwordx2 v[7:8], v10, s[2:3]
	s_waitcnt vmcnt(2)
	v_readfirstlane_b32 s16, v0
	v_readfirstlane_b32 s17, v1
	s_add_u32 s1, s16, 1
	s_addc_u32 s15, s17, 0
	s_add_u32 s12, s1, s12
	s_addc_u32 s13, s15, s13
	s_cmp_eq_u64 s[12:13], 0
	s_cselect_b32 s13, s15, s13
	s_cselect_b32 s12, s1, s12
	v_mov_b32_e32 v16, s13
	s_and_b64 s[16:17], s[12:13], s[16:17]
	v_mov_b32_e32 v15, s12
	s_mul_i32 s1, s17, 24
	s_mul_hi_u32 s15, s16, 24
	s_mul_i32 s16, s16, 24
	s_add_i32 s15, s15, s1
	s_waitcnt vmcnt(0)
	v_add_co_u32 v0, vcc_lo, v7, s16
	v_add_co_ci_u32_e64 v1, null, s15, v8, vcc_lo
	global_store_dwordx2 v[0:1], v[17:18], off
	s_waitcnt_vscnt null, 0x0
	global_atomic_cmpswap_x2 v[15:16], v10, v[15:18], s[2:3] offset:24 glc
	s_waitcnt vmcnt(0)
	v_cmp_ne_u64_e32 vcc_lo, v[15:16], v[17:18]
	s_and_b32 exec_lo, exec_lo, vcc_lo
	s_cbranch_execz .LBB0_413
; %bb.487:                              ;   in Loop: Header=BB0_414 Depth=1
	s_mov_b32 s1, 0
.LBB0_488:                              ;   Parent Loop BB0_414 Depth=1
                                        ; =>  This Inner Loop Header: Depth=2
	v_mov_b32_e32 v13, s12
	v_mov_b32_e32 v14, s13
	s_sleep 1
	global_store_dwordx2 v[0:1], v[15:16], off
	s_waitcnt_vscnt null, 0x0
	global_atomic_cmpswap_x2 v[7:8], v10, v[13:16], s[2:3] offset:24 glc
	s_waitcnt vmcnt(0)
	v_cmp_eq_u64_e32 vcc_lo, v[7:8], v[15:16]
	v_mov_b32_e32 v16, v8
	v_mov_b32_e32 v15, v7
	s_or_b32 s1, vcc_lo, s1
	s_andn2_b32 exec_lo, exec_lo, s1
	s_cbranch_execnz .LBB0_488
	s_branch .LBB0_413
.LBB0_489:
	s_branch .LBB0_518
.LBB0_490:
                                        ; implicit-def: $vgpr5_vgpr6
	s_cbranch_execz .LBB0_518
; %bb.491:
	v_readfirstlane_b32 s1, v33
	v_mov_b32_e32 v0, 0
	v_mov_b32_e32 v1, 0
	v_cmp_eq_u32_e64 s1, s1, v33
	s_and_saveexec_b32 s6, s1
	s_cbranch_execz .LBB0_497
; %bb.492:
	s_waitcnt vmcnt(0)
	v_mov_b32_e32 v5, 0
	s_mov_b32 s7, exec_lo
	global_load_dwordx2 v[8:9], v5, s[2:3] offset:24 glc dlc
	s_waitcnt vmcnt(0)
	buffer_gl1_inv
	buffer_gl0_inv
	s_clause 0x1
	global_load_dwordx2 v[0:1], v5, s[2:3] offset:40
	global_load_dwordx2 v[6:7], v5, s[2:3]
	s_waitcnt vmcnt(1)
	v_and_b32_e32 v1, v1, v9
	v_and_b32_e32 v0, v0, v8
	v_mul_lo_u32 v1, v1, 24
	v_mul_hi_u32 v10, v0, 24
	v_mul_lo_u32 v0, v0, 24
	v_add_nc_u32_e32 v1, v10, v1
	s_waitcnt vmcnt(0)
	v_add_co_u32 v0, vcc_lo, v6, v0
	v_add_co_ci_u32_e64 v1, null, v7, v1, vcc_lo
	global_load_dwordx2 v[6:7], v[0:1], off glc dlc
	s_waitcnt vmcnt(0)
	global_atomic_cmpswap_x2 v[0:1], v5, v[6:9], s[2:3] offset:24 glc
	s_waitcnt vmcnt(0)
	buffer_gl1_inv
	buffer_gl0_inv
	v_cmpx_ne_u64_e64 v[0:1], v[8:9]
	s_cbranch_execz .LBB0_496
; %bb.493:
	s_mov_b32 s8, 0
	.p2align	6
.LBB0_494:                              ; =>This Inner Loop Header: Depth=1
	s_sleep 1
	s_clause 0x1
	global_load_dwordx2 v[6:7], v5, s[2:3] offset:40
	global_load_dwordx2 v[10:11], v5, s[2:3]
	v_mov_b32_e32 v9, v1
	v_mov_b32_e32 v8, v0
	s_waitcnt vmcnt(1)
	v_and_b32_e32 v0, v6, v8
	v_and_b32_e32 v6, v7, v9
	s_waitcnt vmcnt(0)
	v_mad_u64_u32 v[0:1], null, v0, 24, v[10:11]
	v_mad_u64_u32 v[6:7], null, v6, 24, v[1:2]
	v_mov_b32_e32 v1, v6
	global_load_dwordx2 v[6:7], v[0:1], off glc dlc
	s_waitcnt vmcnt(0)
	global_atomic_cmpswap_x2 v[0:1], v5, v[6:9], s[2:3] offset:24 glc
	s_waitcnt vmcnt(0)
	buffer_gl1_inv
	buffer_gl0_inv
	v_cmp_eq_u64_e32 vcc_lo, v[0:1], v[8:9]
	s_or_b32 s8, vcc_lo, s8
	s_andn2_b32 exec_lo, exec_lo, s8
	s_cbranch_execnz .LBB0_494
; %bb.495:
	s_or_b32 exec_lo, exec_lo, s8
.LBB0_496:
	s_or_b32 exec_lo, exec_lo, s7
.LBB0_497:
	s_or_b32 exec_lo, exec_lo, s6
	s_waitcnt vmcnt(0)
	v_mov_b32_e32 v5, 0
	v_readfirstlane_b32 s7, v1
	v_readfirstlane_b32 s6, v0
	s_mov_b32 s10, exec_lo
	s_clause 0x1
	global_load_dwordx2 v[11:12], v5, s[2:3] offset:40
	global_load_dwordx4 v[7:10], v5, s[2:3]
	s_waitcnt vmcnt(1)
	v_readfirstlane_b32 s8, v11
	v_readfirstlane_b32 s9, v12
	s_and_b64 s[8:9], s[8:9], s[6:7]
	s_mul_i32 s11, s9, 24
	s_mul_hi_u32 s12, s8, 24
	s_mul_i32 s13, s8, 24
	s_add_i32 s12, s12, s11
	s_waitcnt vmcnt(0)
	v_add_co_u32 v0, vcc_lo, v7, s13
	v_add_co_ci_u32_e64 v1, null, s12, v8, vcc_lo
	s_and_saveexec_b32 s11, s1
	s_cbranch_execz .LBB0_499
; %bb.498:
	v_mov_b32_e32 v11, s10
	v_mov_b32_e32 v12, v5
	;; [unrolled: 1-line block ×4, first 2 shown]
	global_store_dwordx4 v[0:1], v[11:14], off offset:8
.LBB0_499:
	s_or_b32 exec_lo, exec_lo, s11
	s_lshl_b64 s[8:9], s[8:9], 12
	v_and_or_b32 v3, 0xffffff1f, v3, 32
	v_add_co_u32 v9, vcc_lo, v9, s8
	v_add_co_ci_u32_e64 v10, null, s9, v10, vcc_lo
	s_mov_b32 s8, 0
	v_readfirstlane_b32 s12, v9
	s_mov_b32 s11, s8
	v_add_co_u32 v9, vcc_lo, v9, v30
	s_mov_b32 s9, s8
	s_mov_b32 s10, s8
	v_mov_b32_e32 v6, v5
	v_readfirstlane_b32 s13, v10
	v_mov_b32_e32 v14, s11
	v_add_co_ci_u32_e64 v10, null, 0, v10, vcc_lo
	v_mov_b32_e32 v13, s10
	v_mov_b32_e32 v12, s9
	;; [unrolled: 1-line block ×3, first 2 shown]
	global_store_dwordx4 v30, v[3:6], s[12:13]
	global_store_dwordx4 v30, v[11:14], s[12:13] offset:16
	global_store_dwordx4 v30, v[11:14], s[12:13] offset:32
	;; [unrolled: 1-line block ×3, first 2 shown]
	s_and_saveexec_b32 s8, s1
	s_cbranch_execz .LBB0_507
; %bb.500:
	v_mov_b32_e32 v11, 0
	v_mov_b32_e32 v12, s6
	;; [unrolled: 1-line block ×3, first 2 shown]
	s_clause 0x1
	global_load_dwordx2 v[14:15], v11, s[2:3] offset:32 glc dlc
	global_load_dwordx2 v[3:4], v11, s[2:3] offset:40
	s_waitcnt vmcnt(0)
	v_readfirstlane_b32 s10, v3
	v_readfirstlane_b32 s11, v4
	s_and_b64 s[10:11], s[10:11], s[6:7]
	s_mul_i32 s9, s11, 24
	s_mul_hi_u32 s11, s10, 24
	s_mul_i32 s10, s10, 24
	s_add_i32 s11, s11, s9
	v_add_co_u32 v7, vcc_lo, v7, s10
	v_add_co_ci_u32_e64 v8, null, s11, v8, vcc_lo
	s_mov_b32 s9, exec_lo
	global_store_dwordx2 v[7:8], v[14:15], off
	s_waitcnt_vscnt null, 0x0
	global_atomic_cmpswap_x2 v[5:6], v11, v[12:15], s[2:3] offset:32 glc
	s_waitcnt vmcnt(0)
	v_cmpx_ne_u64_e64 v[5:6], v[14:15]
	s_cbranch_execz .LBB0_503
; %bb.501:
	s_mov_b32 s10, 0
.LBB0_502:                              ; =>This Inner Loop Header: Depth=1
	v_mov_b32_e32 v3, s6
	v_mov_b32_e32 v4, s7
	s_sleep 1
	global_store_dwordx2 v[7:8], v[5:6], off
	s_waitcnt_vscnt null, 0x0
	global_atomic_cmpswap_x2 v[3:4], v11, v[3:6], s[2:3] offset:32 glc
	s_waitcnt vmcnt(0)
	v_cmp_eq_u64_e32 vcc_lo, v[3:4], v[5:6]
	v_mov_b32_e32 v6, v4
	v_mov_b32_e32 v5, v3
	s_or_b32 s10, vcc_lo, s10
	s_andn2_b32 exec_lo, exec_lo, s10
	s_cbranch_execnz .LBB0_502
.LBB0_503:
	s_or_b32 exec_lo, exec_lo, s9
	v_mov_b32_e32 v6, 0
	s_mov_b32 s10, exec_lo
	s_mov_b32 s9, exec_lo
	v_mbcnt_lo_u32_b32 v5, s10, 0
	global_load_dwordx2 v[3:4], v6, s[2:3] offset:16
	v_cmpx_eq_u32_e32 0, v5
	s_cbranch_execz .LBB0_505
; %bb.504:
	s_bcnt1_i32_b32 s10, s10
	v_mov_b32_e32 v5, s10
	s_waitcnt vmcnt(0)
	global_atomic_add_x2 v[3:4], v[5:6], off offset:8
.LBB0_505:
	s_or_b32 exec_lo, exec_lo, s9
	s_waitcnt vmcnt(0)
	global_load_dwordx2 v[5:6], v[3:4], off offset:16
	s_waitcnt vmcnt(0)
	v_cmp_eq_u64_e32 vcc_lo, 0, v[5:6]
	s_cbranch_vccnz .LBB0_507
; %bb.506:
	global_load_dword v3, v[3:4], off offset:24
	v_mov_b32_e32 v4, 0
	s_waitcnt vmcnt(0)
	v_readfirstlane_b32 s9, v3
	s_waitcnt_vscnt null, 0x0
	global_store_dwordx2 v[5:6], v[3:4], off
	s_and_b32 m0, s9, 0x7fffff
	s_sendmsg sendmsg(MSG_INTERRUPT)
.LBB0_507:
	s_or_b32 exec_lo, exec_lo, s8
	s_branch .LBB0_511
	.p2align	6
.LBB0_508:                              ;   in Loop: Header=BB0_511 Depth=1
	s_or_b32 exec_lo, exec_lo, s8
	v_readfirstlane_b32 s8, v3
	s_cmp_eq_u32 s8, 0
	s_cbranch_scc1 .LBB0_510
; %bb.509:                              ;   in Loop: Header=BB0_511 Depth=1
	s_sleep 1
	s_cbranch_execnz .LBB0_511
	s_branch .LBB0_513
	.p2align	6
.LBB0_510:
	s_branch .LBB0_513
.LBB0_511:                              ; =>This Inner Loop Header: Depth=1
	v_mov_b32_e32 v3, 1
	s_and_saveexec_b32 s8, s1
	s_cbranch_execz .LBB0_508
; %bb.512:                              ;   in Loop: Header=BB0_511 Depth=1
	global_load_dword v3, v[0:1], off offset:20 glc dlc
	s_waitcnt vmcnt(0)
	buffer_gl1_inv
	buffer_gl0_inv
	v_and_b32_e32 v3, 1, v3
	s_branch .LBB0_508
.LBB0_513:
	global_load_dwordx2 v[5:6], v[9:10], off
	s_and_saveexec_b32 s8, s1
	s_cbranch_execz .LBB0_517
; %bb.514:
	v_mov_b32_e32 v3, 0
	s_clause 0x2
	global_load_dwordx2 v[0:1], v3, s[2:3] offset:40
	global_load_dwordx2 v[11:12], v3, s[2:3] offset:24 glc dlc
	global_load_dwordx2 v[7:8], v3, s[2:3]
	s_waitcnt vmcnt(2)
	v_readfirstlane_b32 s10, v0
	v_readfirstlane_b32 s11, v1
	s_add_u32 s1, s10, 1
	s_addc_u32 s9, s11, 0
	s_add_u32 s6, s1, s6
	s_addc_u32 s7, s9, s7
	s_cmp_eq_u64 s[6:7], 0
	s_cselect_b32 s7, s9, s7
	s_cselect_b32 s6, s1, s6
	v_mov_b32_e32 v10, s7
	s_and_b64 s[10:11], s[6:7], s[10:11]
	v_mov_b32_e32 v9, s6
	s_mul_i32 s1, s11, 24
	s_mul_hi_u32 s9, s10, 24
	s_mul_i32 s10, s10, 24
	s_add_i32 s9, s9, s1
	s_waitcnt vmcnt(0)
	v_add_co_u32 v0, vcc_lo, v7, s10
	v_add_co_ci_u32_e64 v1, null, s9, v8, vcc_lo
	global_store_dwordx2 v[0:1], v[11:12], off
	s_waitcnt_vscnt null, 0x0
	global_atomic_cmpswap_x2 v[9:10], v3, v[9:12], s[2:3] offset:24 glc
	s_waitcnt vmcnt(0)
	v_cmp_ne_u64_e32 vcc_lo, v[9:10], v[11:12]
	s_and_b32 exec_lo, exec_lo, vcc_lo
	s_cbranch_execz .LBB0_517
; %bb.515:
	s_mov_b32 s1, 0
.LBB0_516:                              ; =>This Inner Loop Header: Depth=1
	v_mov_b32_e32 v7, s6
	v_mov_b32_e32 v8, s7
	s_sleep 1
	global_store_dwordx2 v[0:1], v[9:10], off
	s_waitcnt_vscnt null, 0x0
	global_atomic_cmpswap_x2 v[7:8], v3, v[7:10], s[2:3] offset:24 glc
	s_waitcnt vmcnt(0)
	v_cmp_eq_u64_e32 vcc_lo, v[7:8], v[9:10]
	v_mov_b32_e32 v10, v8
	v_mov_b32_e32 v9, v7
	s_or_b32 s1, vcc_lo, s1
	s_andn2_b32 exec_lo, exec_lo, s1
	s_cbranch_execnz .LBB0_516
.LBB0_517:
	s_or_b32 exec_lo, exec_lo, s8
.LBB0_518:
	v_readfirstlane_b32 s1, v33
	v_mov_b32_e32 v0, 0
	v_mov_b32_e32 v1, 0
	v_cmp_eq_u32_e64 s1, s1, v33
	s_and_saveexec_b32 s6, s1
	s_cbranch_execz .LBB0_524
; %bb.519:
	s_waitcnt vmcnt(0)
	v_mov_b32_e32 v3, 0
	s_mov_b32 s7, exec_lo
	global_load_dwordx2 v[9:10], v3, s[2:3] offset:24 glc dlc
	s_waitcnt vmcnt(0)
	buffer_gl1_inv
	buffer_gl0_inv
	s_clause 0x1
	global_load_dwordx2 v[0:1], v3, s[2:3] offset:40
	global_load_dwordx2 v[7:8], v3, s[2:3]
	s_waitcnt vmcnt(1)
	v_and_b32_e32 v1, v1, v10
	v_and_b32_e32 v0, v0, v9
	v_mul_lo_u32 v1, v1, 24
	v_mul_hi_u32 v4, v0, 24
	v_mul_lo_u32 v0, v0, 24
	v_add_nc_u32_e32 v1, v4, v1
	s_waitcnt vmcnt(0)
	v_add_co_u32 v0, vcc_lo, v7, v0
	v_add_co_ci_u32_e64 v1, null, v8, v1, vcc_lo
	global_load_dwordx2 v[7:8], v[0:1], off glc dlc
	s_waitcnt vmcnt(0)
	global_atomic_cmpswap_x2 v[0:1], v3, v[7:10], s[2:3] offset:24 glc
	s_waitcnt vmcnt(0)
	buffer_gl1_inv
	buffer_gl0_inv
	v_cmpx_ne_u64_e64 v[0:1], v[9:10]
	s_cbranch_execz .LBB0_523
; %bb.520:
	s_mov_b32 s8, 0
	.p2align	6
.LBB0_521:                              ; =>This Inner Loop Header: Depth=1
	s_sleep 1
	s_clause 0x1
	global_load_dwordx2 v[7:8], v3, s[2:3] offset:40
	global_load_dwordx2 v[11:12], v3, s[2:3]
	v_mov_b32_e32 v10, v1
	v_mov_b32_e32 v9, v0
	s_waitcnt vmcnt(1)
	v_and_b32_e32 v0, v7, v9
	v_and_b32_e32 v4, v8, v10
	s_waitcnt vmcnt(0)
	v_mad_u64_u32 v[0:1], null, v0, 24, v[11:12]
	v_mad_u64_u32 v[7:8], null, v4, 24, v[1:2]
	v_mov_b32_e32 v1, v7
	global_load_dwordx2 v[7:8], v[0:1], off glc dlc
	s_waitcnt vmcnt(0)
	global_atomic_cmpswap_x2 v[0:1], v3, v[7:10], s[2:3] offset:24 glc
	s_waitcnt vmcnt(0)
	buffer_gl1_inv
	buffer_gl0_inv
	v_cmp_eq_u64_e32 vcc_lo, v[0:1], v[9:10]
	s_or_b32 s8, vcc_lo, s8
	s_andn2_b32 exec_lo, exec_lo, s8
	s_cbranch_execnz .LBB0_521
; %bb.522:
	s_or_b32 exec_lo, exec_lo, s8
.LBB0_523:
	s_or_b32 exec_lo, exec_lo, s7
.LBB0_524:
	s_or_b32 exec_lo, exec_lo, s6
	v_mov_b32_e32 v8, 0
	v_readfirstlane_b32 s7, v1
	v_readfirstlane_b32 s6, v0
	s_mov_b32 s10, exec_lo
	s_clause 0x1
	global_load_dwordx2 v[3:4], v8, s[2:3] offset:40
	global_load_dwordx4 v[9:12], v8, s[2:3]
	s_waitcnt vmcnt(1)
	v_readfirstlane_b32 s8, v3
	v_readfirstlane_b32 s9, v4
	s_and_b64 s[8:9], s[8:9], s[6:7]
	s_mul_i32 s11, s9, 24
	s_mul_hi_u32 s12, s8, 24
	s_mul_i32 s13, s8, 24
	s_add_i32 s12, s12, s11
	s_waitcnt vmcnt(0)
	v_add_co_u32 v0, vcc_lo, v9, s13
	v_add_co_ci_u32_e64 v1, null, s12, v10, vcc_lo
	s_and_saveexec_b32 s11, s1
	s_cbranch_execz .LBB0_526
; %bb.525:
	v_mov_b32_e32 v7, s10
	v_mov_b32_e32 v14, v8
	;; [unrolled: 1-line block ×5, first 2 shown]
	global_store_dwordx4 v[0:1], v[13:16], off offset:8
.LBB0_526:
	s_or_b32 exec_lo, exec_lo, s11
	s_lshl_b64 s[8:9], s[8:9], 12
	v_add_nc_u32_e32 v7, -1, v34
	v_add_co_u32 v3, vcc_lo, v11, s8
	v_add_co_ci_u32_e64 v4, null, s9, v12, vcc_lo
	s_mov_b32 s8, 0
	v_add_co_u32 v11, vcc_lo, v3, v30
	s_mov_b32 s11, s8
	s_mov_b32 s9, s8
	;; [unrolled: 1-line block ×3, first 2 shown]
	v_and_or_b32 v5, 0xffffff1f, v5, 32
	v_readfirstlane_b32 s12, v3
	v_readfirstlane_b32 s13, v4
	v_mov_b32_e32 v16, s11
	v_add_co_ci_u32_e64 v12, null, 0, v4, vcc_lo
	v_mov_b32_e32 v15, s10
	v_mov_b32_e32 v14, s9
	;; [unrolled: 1-line block ×3, first 2 shown]
	global_store_dwordx4 v30, v[5:8], s[12:13]
	global_store_dwordx4 v30, v[13:16], s[12:13] offset:16
	global_store_dwordx4 v30, v[13:16], s[12:13] offset:32
	;; [unrolled: 1-line block ×3, first 2 shown]
	s_and_saveexec_b32 s8, s1
	s_cbranch_execz .LBB0_534
; %bb.527:
	v_mov_b32_e32 v13, 0
	v_mov_b32_e32 v14, s6
	;; [unrolled: 1-line block ×3, first 2 shown]
	s_clause 0x1
	global_load_dwordx2 v[16:17], v13, s[2:3] offset:32 glc dlc
	global_load_dwordx2 v[3:4], v13, s[2:3] offset:40
	s_waitcnt vmcnt(0)
	v_readfirstlane_b32 s10, v3
	v_readfirstlane_b32 s11, v4
	s_and_b64 s[10:11], s[10:11], s[6:7]
	s_mul_i32 s9, s11, 24
	s_mul_hi_u32 s11, s10, 24
	s_mul_i32 s10, s10, 24
	s_add_i32 s11, s11, s9
	v_add_co_u32 v7, vcc_lo, v9, s10
	v_add_co_ci_u32_e64 v8, null, s11, v10, vcc_lo
	s_mov_b32 s9, exec_lo
	global_store_dwordx2 v[7:8], v[16:17], off
	s_waitcnt_vscnt null, 0x0
	global_atomic_cmpswap_x2 v[5:6], v13, v[14:17], s[2:3] offset:32 glc
	s_waitcnt vmcnt(0)
	v_cmpx_ne_u64_e64 v[5:6], v[16:17]
	s_cbranch_execz .LBB0_530
; %bb.528:
	s_mov_b32 s10, 0
.LBB0_529:                              ; =>This Inner Loop Header: Depth=1
	v_mov_b32_e32 v3, s6
	v_mov_b32_e32 v4, s7
	s_sleep 1
	global_store_dwordx2 v[7:8], v[5:6], off
	s_waitcnt_vscnt null, 0x0
	global_atomic_cmpswap_x2 v[3:4], v13, v[3:6], s[2:3] offset:32 glc
	s_waitcnt vmcnt(0)
	v_cmp_eq_u64_e32 vcc_lo, v[3:4], v[5:6]
	v_mov_b32_e32 v6, v4
	v_mov_b32_e32 v5, v3
	s_or_b32 s10, vcc_lo, s10
	s_andn2_b32 exec_lo, exec_lo, s10
	s_cbranch_execnz .LBB0_529
.LBB0_530:
	s_or_b32 exec_lo, exec_lo, s9
	v_mov_b32_e32 v6, 0
	s_mov_b32 s10, exec_lo
	s_mov_b32 s9, exec_lo
	v_mbcnt_lo_u32_b32 v5, s10, 0
	global_load_dwordx2 v[3:4], v6, s[2:3] offset:16
	v_cmpx_eq_u32_e32 0, v5
	s_cbranch_execz .LBB0_532
; %bb.531:
	s_bcnt1_i32_b32 s10, s10
	v_mov_b32_e32 v5, s10
	s_waitcnt vmcnt(0)
	global_atomic_add_x2 v[3:4], v[5:6], off offset:8
.LBB0_532:
	s_or_b32 exec_lo, exec_lo, s9
	s_waitcnt vmcnt(0)
	global_load_dwordx2 v[5:6], v[3:4], off offset:16
	s_waitcnt vmcnt(0)
	v_cmp_eq_u64_e32 vcc_lo, 0, v[5:6]
	s_cbranch_vccnz .LBB0_534
; %bb.533:
	global_load_dword v3, v[3:4], off offset:24
	v_mov_b32_e32 v4, 0
	s_waitcnt vmcnt(0)
	v_readfirstlane_b32 s9, v3
	s_waitcnt_vscnt null, 0x0
	global_store_dwordx2 v[5:6], v[3:4], off
	s_and_b32 m0, s9, 0x7fffff
	s_sendmsg sendmsg(MSG_INTERRUPT)
.LBB0_534:
	s_or_b32 exec_lo, exec_lo, s8
	s_branch .LBB0_538
	.p2align	6
.LBB0_535:                              ;   in Loop: Header=BB0_538 Depth=1
	s_or_b32 exec_lo, exec_lo, s8
	v_readfirstlane_b32 s8, v3
	s_cmp_eq_u32 s8, 0
	s_cbranch_scc1 .LBB0_537
; %bb.536:                              ;   in Loop: Header=BB0_538 Depth=1
	s_sleep 1
	s_cbranch_execnz .LBB0_538
	s_branch .LBB0_540
	.p2align	6
.LBB0_537:
	s_branch .LBB0_540
.LBB0_538:                              ; =>This Inner Loop Header: Depth=1
	v_mov_b32_e32 v3, 1
	s_and_saveexec_b32 s8, s1
	s_cbranch_execz .LBB0_535
; %bb.539:                              ;   in Loop: Header=BB0_538 Depth=1
	global_load_dword v3, v[0:1], off offset:20 glc dlc
	s_waitcnt vmcnt(0)
	buffer_gl1_inv
	buffer_gl0_inv
	v_and_b32_e32 v3, 1, v3
	s_branch .LBB0_535
.LBB0_540:
	global_load_dwordx2 v[3:4], v[11:12], off
	s_and_saveexec_b32 s8, s1
	s_cbranch_execz .LBB0_544
; %bb.541:
	v_mov_b32_e32 v9, 0
	s_clause 0x2
	global_load_dwordx2 v[0:1], v9, s[2:3] offset:40
	global_load_dwordx2 v[12:13], v9, s[2:3] offset:24 glc dlc
	global_load_dwordx2 v[5:6], v9, s[2:3]
	s_waitcnt vmcnt(2)
	v_readfirstlane_b32 s10, v0
	v_readfirstlane_b32 s11, v1
	s_add_u32 s1, s10, 1
	s_addc_u32 s9, s11, 0
	s_add_u32 s6, s1, s6
	s_addc_u32 s7, s9, s7
	s_cmp_eq_u64 s[6:7], 0
	s_cselect_b32 s7, s9, s7
	s_cselect_b32 s6, s1, s6
	v_mov_b32_e32 v11, s7
	s_and_b64 s[10:11], s[6:7], s[10:11]
	v_mov_b32_e32 v10, s6
	s_mul_i32 s1, s11, 24
	s_mul_hi_u32 s9, s10, 24
	s_mul_i32 s10, s10, 24
	s_add_i32 s9, s9, s1
	s_waitcnt vmcnt(0)
	v_add_co_u32 v0, vcc_lo, v5, s10
	v_add_co_ci_u32_e64 v1, null, s9, v6, vcc_lo
	global_store_dwordx2 v[0:1], v[12:13], off
	s_waitcnt_vscnt null, 0x0
	global_atomic_cmpswap_x2 v[7:8], v9, v[10:13], s[2:3] offset:24 glc
	s_waitcnt vmcnt(0)
	v_cmp_ne_u64_e32 vcc_lo, v[7:8], v[12:13]
	s_and_b32 exec_lo, exec_lo, vcc_lo
	s_cbranch_execz .LBB0_544
; %bb.542:
	s_mov_b32 s1, 0
.LBB0_543:                              ; =>This Inner Loop Header: Depth=1
	v_mov_b32_e32 v5, s6
	v_mov_b32_e32 v6, s7
	s_sleep 1
	global_store_dwordx2 v[0:1], v[7:8], off
	s_waitcnt_vscnt null, 0x0
	global_atomic_cmpswap_x2 v[5:6], v9, v[5:8], s[2:3] offset:24 glc
	s_waitcnt vmcnt(0)
	v_cmp_eq_u64_e32 vcc_lo, v[5:6], v[7:8]
	v_mov_b32_e32 v8, v6
	v_mov_b32_e32 v7, v5
	s_or_b32 s1, vcc_lo, s1
	s_andn2_b32 exec_lo, exec_lo, s1
	s_cbranch_execnz .LBB0_543
.LBB0_544:
	s_or_b32 exec_lo, exec_lo, s8
	v_readfirstlane_b32 s1, v33
	v_mov_b32_e32 v0, 0
	v_mov_b32_e32 v1, 0
	v_cmp_eq_u32_e64 s1, s1, v33
	s_and_saveexec_b32 s6, s1
	s_cbranch_execz .LBB0_550
; %bb.545:
	v_mov_b32_e32 v5, 0
	s_mov_b32 s7, exec_lo
	global_load_dwordx2 v[8:9], v5, s[2:3] offset:24 glc dlc
	s_waitcnt vmcnt(0)
	buffer_gl1_inv
	buffer_gl0_inv
	s_clause 0x1
	global_load_dwordx2 v[0:1], v5, s[2:3] offset:40
	global_load_dwordx2 v[6:7], v5, s[2:3]
	s_waitcnt vmcnt(1)
	v_and_b32_e32 v1, v1, v9
	v_and_b32_e32 v0, v0, v8
	v_mul_lo_u32 v1, v1, 24
	v_mul_hi_u32 v10, v0, 24
	v_mul_lo_u32 v0, v0, 24
	v_add_nc_u32_e32 v1, v10, v1
	s_waitcnt vmcnt(0)
	v_add_co_u32 v0, vcc_lo, v6, v0
	v_add_co_ci_u32_e64 v1, null, v7, v1, vcc_lo
	global_load_dwordx2 v[6:7], v[0:1], off glc dlc
	s_waitcnt vmcnt(0)
	global_atomic_cmpswap_x2 v[0:1], v5, v[6:9], s[2:3] offset:24 glc
	s_waitcnt vmcnt(0)
	buffer_gl1_inv
	buffer_gl0_inv
	v_cmpx_ne_u64_e64 v[0:1], v[8:9]
	s_cbranch_execz .LBB0_549
; %bb.546:
	s_mov_b32 s8, 0
	.p2align	6
.LBB0_547:                              ; =>This Inner Loop Header: Depth=1
	s_sleep 1
	s_clause 0x1
	global_load_dwordx2 v[6:7], v5, s[2:3] offset:40
	global_load_dwordx2 v[10:11], v5, s[2:3]
	v_mov_b32_e32 v9, v1
	v_mov_b32_e32 v8, v0
	s_waitcnt vmcnt(1)
	v_and_b32_e32 v0, v6, v8
	v_and_b32_e32 v6, v7, v9
	s_waitcnt vmcnt(0)
	v_mad_u64_u32 v[0:1], null, v0, 24, v[10:11]
	v_mad_u64_u32 v[6:7], null, v6, 24, v[1:2]
	v_mov_b32_e32 v1, v6
	global_load_dwordx2 v[6:7], v[0:1], off glc dlc
	s_waitcnt vmcnt(0)
	global_atomic_cmpswap_x2 v[0:1], v5, v[6:9], s[2:3] offset:24 glc
	s_waitcnt vmcnt(0)
	buffer_gl1_inv
	buffer_gl0_inv
	v_cmp_eq_u64_e32 vcc_lo, v[0:1], v[8:9]
	s_or_b32 s8, vcc_lo, s8
	s_andn2_b32 exec_lo, exec_lo, s8
	s_cbranch_execnz .LBB0_547
; %bb.548:
	s_or_b32 exec_lo, exec_lo, s8
.LBB0_549:
	s_or_b32 exec_lo, exec_lo, s7
.LBB0_550:
	s_or_b32 exec_lo, exec_lo, s6
	v_mov_b32_e32 v6, 0
	v_readfirstlane_b32 s7, v1
	v_readfirstlane_b32 s6, v0
	s_mov_b32 s10, exec_lo
	s_clause 0x1
	global_load_dwordx2 v[11:12], v6, s[2:3] offset:40
	global_load_dwordx4 v[7:10], v6, s[2:3]
	s_waitcnt vmcnt(1)
	v_readfirstlane_b32 s8, v11
	v_readfirstlane_b32 s9, v12
	s_and_b64 s[8:9], s[8:9], s[6:7]
	s_mul_i32 s11, s9, 24
	s_mul_hi_u32 s12, s8, 24
	s_mul_i32 s13, s8, 24
	s_add_i32 s12, s12, s11
	s_waitcnt vmcnt(0)
	v_add_co_u32 v0, vcc_lo, v7, s13
	v_add_co_ci_u32_e64 v1, null, s12, v8, vcc_lo
	s_and_saveexec_b32 s11, s1
	s_cbranch_execz .LBB0_552
; %bb.551:
	v_mov_b32_e32 v5, s10
	v_mov_b32_e32 v12, v6
	;; [unrolled: 1-line block ×5, first 2 shown]
	global_store_dwordx4 v[0:1], v[11:14], off offset:8
.LBB0_552:
	s_or_b32 exec_lo, exec_lo, s11
	s_lshl_b64 s[8:9], s[8:9], 12
	v_cndmask_b32_e64 v5, -1, v32, s0
	v_add_co_u32 v9, vcc_lo, v9, s8
	v_add_co_ci_u32_e64 v11, null, s9, v10, vcc_lo
	s_mov_b32 s8, 0
	v_add_co_u32 v10, vcc_lo, v9, v30
	s_mov_b32 s11, s8
	s_mov_b32 s9, s8
	;; [unrolled: 1-line block ×3, first 2 shown]
	v_and_or_b32 v3, 0xffffff1f, v3, 32
	v_readfirstlane_b32 s12, v9
	v_readfirstlane_b32 s13, v11
	v_mov_b32_e32 v15, s11
	v_add_co_ci_u32_e64 v11, null, 0, v11, vcc_lo
	v_mov_b32_e32 v14, s10
	v_mov_b32_e32 v13, s9
	;; [unrolled: 1-line block ×3, first 2 shown]
	global_store_dwordx4 v30, v[3:6], s[12:13]
	global_store_dwordx4 v30, v[12:15], s[12:13] offset:16
	global_store_dwordx4 v30, v[12:15], s[12:13] offset:32
	;; [unrolled: 1-line block ×3, first 2 shown]
	s_and_saveexec_b32 s0, s1
	s_cbranch_execz .LBB0_560
; %bb.553:
	v_mov_b32_e32 v12, 0
	v_mov_b32_e32 v13, s6
	;; [unrolled: 1-line block ×3, first 2 shown]
	s_clause 0x1
	global_load_dwordx2 v[15:16], v12, s[2:3] offset:32 glc dlc
	global_load_dwordx2 v[3:4], v12, s[2:3] offset:40
	s_waitcnt vmcnt(0)
	v_readfirstlane_b32 s8, v3
	v_readfirstlane_b32 s9, v4
	s_and_b64 s[8:9], s[8:9], s[6:7]
	s_mul_i32 s9, s9, 24
	s_mul_hi_u32 s10, s8, 24
	s_mul_i32 s8, s8, 24
	s_add_i32 s10, s10, s9
	v_add_co_u32 v3, vcc_lo, v7, s8
	v_add_co_ci_u32_e64 v4, null, s10, v8, vcc_lo
	s_mov_b32 s8, exec_lo
	global_store_dwordx2 v[3:4], v[15:16], off
	s_waitcnt_vscnt null, 0x0
	global_atomic_cmpswap_x2 v[8:9], v12, v[13:16], s[2:3] offset:32 glc
	s_waitcnt vmcnt(0)
	v_cmpx_ne_u64_e64 v[8:9], v[15:16]
	s_cbranch_execz .LBB0_556
; %bb.554:
	s_mov_b32 s9, 0
.LBB0_555:                              ; =>This Inner Loop Header: Depth=1
	v_mov_b32_e32 v6, s6
	v_mov_b32_e32 v7, s7
	s_sleep 1
	global_store_dwordx2 v[3:4], v[8:9], off
	s_waitcnt_vscnt null, 0x0
	global_atomic_cmpswap_x2 v[6:7], v12, v[6:9], s[2:3] offset:32 glc
	s_waitcnt vmcnt(0)
	v_cmp_eq_u64_e32 vcc_lo, v[6:7], v[8:9]
	v_mov_b32_e32 v9, v7
	v_mov_b32_e32 v8, v6
	s_or_b32 s9, vcc_lo, s9
	s_andn2_b32 exec_lo, exec_lo, s9
	s_cbranch_execnz .LBB0_555
.LBB0_556:
	s_or_b32 exec_lo, exec_lo, s8
	v_mov_b32_e32 v7, 0
	s_mov_b32 s9, exec_lo
	s_mov_b32 s8, exec_lo
	v_mbcnt_lo_u32_b32 v6, s9, 0
	global_load_dwordx2 v[3:4], v7, s[2:3] offset:16
	v_cmpx_eq_u32_e32 0, v6
	s_cbranch_execz .LBB0_558
; %bb.557:
	s_bcnt1_i32_b32 s9, s9
	v_mov_b32_e32 v6, s9
	s_waitcnt vmcnt(0)
	global_atomic_add_x2 v[3:4], v[6:7], off offset:8
.LBB0_558:
	s_or_b32 exec_lo, exec_lo, s8
	s_waitcnt vmcnt(0)
	global_load_dwordx2 v[6:7], v[3:4], off offset:16
	s_waitcnt vmcnt(0)
	v_cmp_eq_u64_e32 vcc_lo, 0, v[6:7]
	s_cbranch_vccnz .LBB0_560
; %bb.559:
	global_load_dword v3, v[3:4], off offset:24
	v_mov_b32_e32 v4, 0
	s_waitcnt vmcnt(0)
	v_readfirstlane_b32 s8, v3
	s_waitcnt_vscnt null, 0x0
	global_store_dwordx2 v[6:7], v[3:4], off
	s_and_b32 m0, s8, 0x7fffff
	s_sendmsg sendmsg(MSG_INTERRUPT)
.LBB0_560:
	s_or_b32 exec_lo, exec_lo, s0
	s_branch .LBB0_564
	.p2align	6
.LBB0_561:                              ;   in Loop: Header=BB0_564 Depth=1
	s_or_b32 exec_lo, exec_lo, s0
	v_readfirstlane_b32 s0, v3
	s_cmp_eq_u32 s0, 0
	s_cbranch_scc1 .LBB0_563
; %bb.562:                              ;   in Loop: Header=BB0_564 Depth=1
	s_sleep 1
	s_cbranch_execnz .LBB0_564
	s_branch .LBB0_566
	.p2align	6
.LBB0_563:
	s_branch .LBB0_566
.LBB0_564:                              ; =>This Inner Loop Header: Depth=1
	v_mov_b32_e32 v3, 1
	s_and_saveexec_b32 s0, s1
	s_cbranch_execz .LBB0_561
; %bb.565:                              ;   in Loop: Header=BB0_564 Depth=1
	global_load_dword v3, v[0:1], off offset:20 glc dlc
	s_waitcnt vmcnt(0)
	buffer_gl1_inv
	buffer_gl0_inv
	v_and_b32_e32 v3, 1, v3
	s_branch .LBB0_561
.LBB0_566:
	global_load_dwordx2 v[0:1], v[10:11], off
	s_and_saveexec_b32 s8, s1
	s_cbranch_execz .LBB0_570
; %bb.567:
	v_mov_b32_e32 v10, 0
	s_clause 0x2
	global_load_dwordx2 v[3:4], v10, s[2:3] offset:40
	global_load_dwordx2 v[13:14], v10, s[2:3] offset:24 glc dlc
	global_load_dwordx2 v[6:7], v10, s[2:3]
	s_waitcnt vmcnt(2)
	v_readfirstlane_b32 s10, v3
	v_readfirstlane_b32 s11, v4
	s_add_u32 s9, s10, 1
	s_addc_u32 s12, s11, 0
	s_add_u32 s0, s9, s6
	s_addc_u32 s1, s12, s7
	s_cmp_eq_u64 s[0:1], 0
	s_cselect_b32 s1, s12, s1
	s_cselect_b32 s0, s9, s0
	v_mov_b32_e32 v12, s1
	s_and_b64 s[6:7], s[0:1], s[10:11]
	v_mov_b32_e32 v11, s0
	s_mul_i32 s7, s7, 24
	s_mul_hi_u32 s9, s6, 24
	s_mul_i32 s6, s6, 24
	s_add_i32 s9, s9, s7
	s_waitcnt vmcnt(0)
	v_add_co_u32 v3, vcc_lo, v6, s6
	v_add_co_ci_u32_e64 v4, null, s9, v7, vcc_lo
	global_store_dwordx2 v[3:4], v[13:14], off
	s_waitcnt_vscnt null, 0x0
	global_atomic_cmpswap_x2 v[8:9], v10, v[11:14], s[2:3] offset:24 glc
	s_waitcnt vmcnt(0)
	v_cmp_ne_u64_e32 vcc_lo, v[8:9], v[13:14]
	s_and_b32 exec_lo, exec_lo, vcc_lo
	s_cbranch_execz .LBB0_570
; %bb.568:
	s_mov_b32 s6, 0
.LBB0_569:                              ; =>This Inner Loop Header: Depth=1
	v_mov_b32_e32 v6, s0
	v_mov_b32_e32 v7, s1
	s_sleep 1
	global_store_dwordx2 v[3:4], v[8:9], off
	s_waitcnt_vscnt null, 0x0
	global_atomic_cmpswap_x2 v[6:7], v10, v[6:9], s[2:3] offset:24 glc
	s_waitcnt vmcnt(0)
	v_cmp_eq_u64_e32 vcc_lo, v[6:7], v[8:9]
	v_mov_b32_e32 v9, v7
	v_mov_b32_e32 v8, v6
	s_or_b32 s6, vcc_lo, s6
	s_andn2_b32 exec_lo, exec_lo, s6
	s_cbranch_execnz .LBB0_569
.LBB0_570:
	s_or_b32 exec_lo, exec_lo, s8
	v_readfirstlane_b32 s0, v33
	v_mov_b32_e32 v3, 0
	v_mov_b32_e32 v4, 0
	v_cmp_eq_u32_e64 s0, s0, v33
	s_and_saveexec_b32 s1, s0
	s_cbranch_execz .LBB0_576
; %bb.571:
	v_mov_b32_e32 v6, 0
	s_mov_b32 s6, exec_lo
	global_load_dwordx2 v[9:10], v6, s[2:3] offset:24 glc dlc
	s_waitcnt vmcnt(0)
	buffer_gl1_inv
	buffer_gl0_inv
	s_clause 0x1
	global_load_dwordx2 v[3:4], v6, s[2:3] offset:40
	global_load_dwordx2 v[7:8], v6, s[2:3]
	s_waitcnt vmcnt(1)
	v_and_b32_e32 v4, v4, v10
	v_and_b32_e32 v3, v3, v9
	v_mul_lo_u32 v4, v4, 24
	v_mul_hi_u32 v11, v3, 24
	v_mul_lo_u32 v3, v3, 24
	v_add_nc_u32_e32 v4, v11, v4
	s_waitcnt vmcnt(0)
	v_add_co_u32 v3, vcc_lo, v7, v3
	v_add_co_ci_u32_e64 v4, null, v8, v4, vcc_lo
	global_load_dwordx2 v[7:8], v[3:4], off glc dlc
	s_waitcnt vmcnt(0)
	global_atomic_cmpswap_x2 v[3:4], v6, v[7:10], s[2:3] offset:24 glc
	s_waitcnt vmcnt(0)
	buffer_gl1_inv
	buffer_gl0_inv
	v_cmpx_ne_u64_e64 v[3:4], v[9:10]
	s_cbranch_execz .LBB0_575
; %bb.572:
	s_mov_b32 s7, 0
	.p2align	6
.LBB0_573:                              ; =>This Inner Loop Header: Depth=1
	s_sleep 1
	s_clause 0x1
	global_load_dwordx2 v[7:8], v6, s[2:3] offset:40
	global_load_dwordx2 v[11:12], v6, s[2:3]
	v_mov_b32_e32 v10, v4
	v_mov_b32_e32 v9, v3
	s_waitcnt vmcnt(1)
	v_and_b32_e32 v3, v7, v9
	v_and_b32_e32 v7, v8, v10
	s_waitcnt vmcnt(0)
	v_mad_u64_u32 v[3:4], null, v3, 24, v[11:12]
	v_mad_u64_u32 v[7:8], null, v7, 24, v[4:5]
	v_mov_b32_e32 v4, v7
	global_load_dwordx2 v[7:8], v[3:4], off glc dlc
	s_waitcnt vmcnt(0)
	global_atomic_cmpswap_x2 v[3:4], v6, v[7:10], s[2:3] offset:24 glc
	s_waitcnt vmcnt(0)
	buffer_gl1_inv
	buffer_gl0_inv
	v_cmp_eq_u64_e32 vcc_lo, v[3:4], v[9:10]
	s_or_b32 s7, vcc_lo, s7
	s_andn2_b32 exec_lo, exec_lo, s7
	s_cbranch_execnz .LBB0_573
; %bb.574:
	s_or_b32 exec_lo, exec_lo, s7
.LBB0_575:
	s_or_b32 exec_lo, exec_lo, s6
.LBB0_576:
	s_or_b32 exec_lo, exec_lo, s1
	v_mov_b32_e32 v11, 0
	v_readfirstlane_b32 s7, v4
	v_readfirstlane_b32 s6, v3
	s_mov_b32 s1, exec_lo
	s_clause 0x1
	global_load_dwordx2 v[12:13], v11, s[2:3] offset:40
	global_load_dwordx4 v[6:9], v11, s[2:3]
	s_waitcnt vmcnt(1)
	v_readfirstlane_b32 s8, v12
	v_readfirstlane_b32 s9, v13
	s_and_b64 s[8:9], s[8:9], s[6:7]
	s_mul_i32 s10, s9, 24
	s_mul_hi_u32 s11, s8, 24
	s_mul_i32 s12, s8, 24
	s_add_i32 s11, s11, s10
	s_waitcnt vmcnt(0)
	v_add_co_u32 v14, vcc_lo, v6, s12
	v_add_co_ci_u32_e64 v15, null, s11, v7, vcc_lo
	s_and_saveexec_b32 s10, s0
	s_cbranch_execz .LBB0_578
; %bb.577:
	v_mov_b32_e32 v10, s1
	v_mov_b32_e32 v12, 2
	;; [unrolled: 1-line block ×3, first 2 shown]
	global_store_dwordx4 v[14:15], v[10:13], off offset:8
.LBB0_578:
	s_or_b32 exec_lo, exec_lo, s10
	s_lshl_b64 s[8:9], s[8:9], 12
	v_and_or_b32 v0, 0xffffff1d, v0, 34
	v_add_co_u32 v4, vcc_lo, v8, s8
	v_add_co_ci_u32_e64 v8, null, s9, v9, vcc_lo
	s_mov_b32 s8, 0
	v_mov_b32_e32 v3, v31
	s_mov_b32 s9, s8
	s_mov_b32 s10, s8
	;; [unrolled: 1-line block ×3, first 2 shown]
	v_readfirstlane_b32 s12, v4
	v_readfirstlane_b32 s13, v8
	v_mov_b32_e32 v8, s8
	v_mov_b32_e32 v9, s9
	;; [unrolled: 1-line block ×4, first 2 shown]
	global_store_dwordx4 v30, v[0:3], s[12:13]
	global_store_dwordx4 v30, v[8:11], s[12:13] offset:16
	global_store_dwordx4 v30, v[8:11], s[12:13] offset:32
	;; [unrolled: 1-line block ×3, first 2 shown]
	s_and_saveexec_b32 s1, s0
	s_cbranch_execz .LBB0_586
; %bb.579:
	v_mov_b32_e32 v3, 0
	v_mov_b32_e32 v8, s6
	v_mov_b32_e32 v9, s7
	s_clause 0x1
	global_load_dwordx2 v[10:11], v3, s[2:3] offset:32 glc dlc
	global_load_dwordx2 v[0:1], v3, s[2:3] offset:40
	s_waitcnt vmcnt(0)
	v_readfirstlane_b32 s8, v0
	v_readfirstlane_b32 s9, v1
	s_and_b64 s[8:9], s[8:9], s[6:7]
	s_mul_i32 s9, s9, 24
	s_mul_hi_u32 s10, s8, 24
	s_mul_i32 s8, s8, 24
	s_add_i32 s10, s10, s9
	v_add_co_u32 v0, vcc_lo, v6, s8
	v_add_co_ci_u32_e64 v1, null, s10, v7, vcc_lo
	s_mov_b32 s8, exec_lo
	global_store_dwordx2 v[0:1], v[10:11], off
	s_waitcnt_vscnt null, 0x0
	global_atomic_cmpswap_x2 v[8:9], v3, v[8:11], s[2:3] offset:32 glc
	s_waitcnt vmcnt(0)
	v_cmpx_ne_u64_e64 v[8:9], v[10:11]
	s_cbranch_execz .LBB0_582
; %bb.580:
	s_mov_b32 s9, 0
.LBB0_581:                              ; =>This Inner Loop Header: Depth=1
	v_mov_b32_e32 v6, s6
	v_mov_b32_e32 v7, s7
	s_sleep 1
	global_store_dwordx2 v[0:1], v[8:9], off
	s_waitcnt_vscnt null, 0x0
	global_atomic_cmpswap_x2 v[6:7], v3, v[6:9], s[2:3] offset:32 glc
	s_waitcnt vmcnt(0)
	v_cmp_eq_u64_e32 vcc_lo, v[6:7], v[8:9]
	v_mov_b32_e32 v9, v7
	v_mov_b32_e32 v8, v6
	s_or_b32 s9, vcc_lo, s9
	s_andn2_b32 exec_lo, exec_lo, s9
	s_cbranch_execnz .LBB0_581
.LBB0_582:
	s_or_b32 exec_lo, exec_lo, s8
	v_mov_b32_e32 v4, 0
	s_mov_b32 s9, exec_lo
	s_mov_b32 s8, exec_lo
	v_mbcnt_lo_u32_b32 v3, s9, 0
	global_load_dwordx2 v[0:1], v4, s[2:3] offset:16
	v_cmpx_eq_u32_e32 0, v3
	s_cbranch_execz .LBB0_584
; %bb.583:
	s_bcnt1_i32_b32 s9, s9
	v_mov_b32_e32 v3, s9
	s_waitcnt vmcnt(0)
	global_atomic_add_x2 v[0:1], v[3:4], off offset:8
.LBB0_584:
	s_or_b32 exec_lo, exec_lo, s8
	s_waitcnt vmcnt(0)
	global_load_dwordx2 v[3:4], v[0:1], off offset:16
	s_waitcnt vmcnt(0)
	v_cmp_eq_u64_e32 vcc_lo, 0, v[3:4]
	s_cbranch_vccnz .LBB0_586
; %bb.585:
	global_load_dword v0, v[0:1], off offset:24
	v_mov_b32_e32 v1, 0
	s_waitcnt vmcnt(0)
	v_readfirstlane_b32 s8, v0
	s_waitcnt_vscnt null, 0x0
	global_store_dwordx2 v[3:4], v[0:1], off
	s_and_b32 m0, s8, 0x7fffff
	s_sendmsg sendmsg(MSG_INTERRUPT)
.LBB0_586:
	s_or_b32 exec_lo, exec_lo, s1
	s_branch .LBB0_590
	.p2align	6
.LBB0_587:                              ;   in Loop: Header=BB0_590 Depth=1
	s_or_b32 exec_lo, exec_lo, s1
	v_readfirstlane_b32 s1, v0
	s_cmp_eq_u32 s1, 0
	s_cbranch_scc1 .LBB0_589
; %bb.588:                              ;   in Loop: Header=BB0_590 Depth=1
	s_sleep 1
	s_cbranch_execnz .LBB0_590
	s_branch .LBB0_592
	.p2align	6
.LBB0_589:
	s_branch .LBB0_592
.LBB0_590:                              ; =>This Inner Loop Header: Depth=1
	v_mov_b32_e32 v0, 1
	s_and_saveexec_b32 s1, s0
	s_cbranch_execz .LBB0_587
; %bb.591:                              ;   in Loop: Header=BB0_590 Depth=1
	global_load_dword v0, v[14:15], off offset:20 glc dlc
	s_waitcnt vmcnt(0)
	buffer_gl1_inv
	buffer_gl0_inv
	v_and_b32_e32 v0, 1, v0
	s_branch .LBB0_587
.LBB0_592:
	s_and_saveexec_b32 s8, s0
	s_cbranch_execz .LBB0_596
; %bb.593:
	v_mov_b32_e32 v3, 0
	s_clause 0x2
	global_load_dwordx2 v[0:1], v3, s[2:3] offset:40
	global_load_dwordx2 v[10:11], v3, s[2:3] offset:24 glc dlc
	global_load_dwordx2 v[6:7], v3, s[2:3]
	s_waitcnt vmcnt(2)
	v_readfirstlane_b32 s10, v0
	v_readfirstlane_b32 s11, v1
	s_add_u32 s9, s10, 1
	s_addc_u32 s12, s11, 0
	s_add_u32 s0, s9, s6
	s_addc_u32 s1, s12, s7
	s_cmp_eq_u64 s[0:1], 0
	s_cselect_b32 s1, s12, s1
	s_cselect_b32 s0, s9, s0
	v_mov_b32_e32 v9, s1
	s_and_b64 s[6:7], s[0:1], s[10:11]
	v_mov_b32_e32 v8, s0
	s_mul_i32 s7, s7, 24
	s_mul_hi_u32 s9, s6, 24
	s_mul_i32 s6, s6, 24
	s_add_i32 s9, s9, s7
	s_waitcnt vmcnt(0)
	v_add_co_u32 v0, vcc_lo, v6, s6
	v_add_co_ci_u32_e64 v1, null, s9, v7, vcc_lo
	global_store_dwordx2 v[0:1], v[10:11], off
	s_waitcnt_vscnt null, 0x0
	global_atomic_cmpswap_x2 v[8:9], v3, v[8:11], s[2:3] offset:24 glc
	s_waitcnt vmcnt(0)
	v_cmp_ne_u64_e32 vcc_lo, v[8:9], v[10:11]
	s_and_b32 exec_lo, exec_lo, vcc_lo
	s_cbranch_execz .LBB0_596
; %bb.594:
	s_mov_b32 s6, 0
.LBB0_595:                              ; =>This Inner Loop Header: Depth=1
	v_mov_b32_e32 v6, s0
	v_mov_b32_e32 v7, s1
	s_sleep 1
	global_store_dwordx2 v[0:1], v[8:9], off
	s_waitcnt_vscnt null, 0x0
	global_atomic_cmpswap_x2 v[6:7], v3, v[6:9], s[2:3] offset:24 glc
	s_waitcnt vmcnt(0)
	v_cmp_eq_u64_e32 vcc_lo, v[6:7], v[8:9]
	v_mov_b32_e32 v9, v7
	v_mov_b32_e32 v8, v6
	s_or_b32 s6, vcc_lo, s6
	s_andn2_b32 exec_lo, exec_lo, s6
	s_cbranch_execnz .LBB0_595
.LBB0_596:
	s_or_b32 exec_lo, exec_lo, s8
	v_mul_lo_u32 v0, v29, s20
	v_add_nc_u32_e32 v1, 1, v29
	s_load_dwordx2 s[0:1], s[4:5], 0x8
	v_sub_nc_u32_e32 v0, v2, v0
	v_subrev_nc_u32_e32 v2, s20, v0
	v_cmp_le_u32_e32 vcc_lo, s20, v0
	v_cndmask_b32_e32 v3, v29, v1, vcc_lo
	v_cndmask_b32_e32 v0, v0, v2, vcc_lo
	v_mov_b32_e32 v1, 0
	v_add_nc_u32_e32 v2, 1, v3
	v_cmp_le_u32_e32 vcc_lo, s20, v0
	v_cndmask_b32_e32 v0, v3, v2, vcc_lo
	v_lshlrev_b64 v[0:1], 2, v[0:1]
	s_waitcnt lgkmcnt(0)
	v_add_co_u32 v0, vcc_lo, s0, v0
	v_add_co_ci_u32_e64 v1, null, s1, v1, vcc_lo
	global_store_dword v[0:1], v5, off
.LBB0_597:
	s_or_b32 exec_lo, exec_lo, s19
.LBB0_598:
	s_and_b32 vcc_lo, exec_lo, s18
	s_cbranch_vccnz .LBB0_600
; %bb.599:
	s_endpgm
.LBB0_600:
	s_trap 2
	; divergent unreachable
	s_endpgm
	.section	.rodata,"a",@progbits
	.p2align	6, 0x0
	.amdhsa_kernel _Z33kernel_cg_group_partition_dynamicjPibS_
		.amdhsa_group_segment_fixed_size 0
		.amdhsa_private_segment_fixed_size 0
		.amdhsa_kernarg_size 288
		.amdhsa_user_sgpr_count 6
		.amdhsa_user_sgpr_private_segment_buffer 1
		.amdhsa_user_sgpr_dispatch_ptr 0
		.amdhsa_user_sgpr_queue_ptr 0
		.amdhsa_user_sgpr_kernarg_segment_ptr 1
		.amdhsa_user_sgpr_dispatch_id 0
		.amdhsa_user_sgpr_flat_scratch_init 0
		.amdhsa_user_sgpr_private_segment_size 0
		.amdhsa_wavefront_size32 1
		.amdhsa_uses_dynamic_stack 0
		.amdhsa_system_sgpr_private_segment_wavefront_offset 0
		.amdhsa_system_sgpr_workgroup_id_x 1
		.amdhsa_system_sgpr_workgroup_id_y 0
		.amdhsa_system_sgpr_workgroup_id_z 0
		.amdhsa_system_sgpr_workgroup_info 0
		.amdhsa_system_vgpr_workitem_id 2
		.amdhsa_next_free_vgpr 38
		.amdhsa_next_free_sgpr 28
		.amdhsa_reserve_vcc 1
		.amdhsa_reserve_flat_scratch 0
		.amdhsa_float_round_mode_32 0
		.amdhsa_float_round_mode_16_64 0
		.amdhsa_float_denorm_mode_32 3
		.amdhsa_float_denorm_mode_16_64 3
		.amdhsa_dx10_clamp 1
		.amdhsa_ieee_mode 1
		.amdhsa_fp16_overflow 0
		.amdhsa_workgroup_processor_mode 1
		.amdhsa_memory_ordered 1
		.amdhsa_forward_progress 1
		.amdhsa_shared_vgpr_count 0
		.amdhsa_exception_fp_ieee_invalid_op 0
		.amdhsa_exception_fp_denorm_src 0
		.amdhsa_exception_fp_ieee_div_zero 0
		.amdhsa_exception_fp_ieee_overflow 0
		.amdhsa_exception_fp_ieee_underflow 0
		.amdhsa_exception_fp_ieee_inexact 0
		.amdhsa_exception_int_div_zero 0
	.end_amdhsa_kernel
	.text
.Lfunc_end0:
	.size	_Z33kernel_cg_group_partition_dynamicjPibS_, .Lfunc_end0-_Z33kernel_cg_group_partition_dynamicjPibS_
                                        ; -- End function
	.set _Z33kernel_cg_group_partition_dynamicjPibS_.num_vgpr, 38
	.set _Z33kernel_cg_group_partition_dynamicjPibS_.num_agpr, 0
	.set _Z33kernel_cg_group_partition_dynamicjPibS_.numbered_sgpr, 28
	.set _Z33kernel_cg_group_partition_dynamicjPibS_.num_named_barrier, 0
	.set _Z33kernel_cg_group_partition_dynamicjPibS_.private_seg_size, 0
	.set _Z33kernel_cg_group_partition_dynamicjPibS_.uses_vcc, 1
	.set _Z33kernel_cg_group_partition_dynamicjPibS_.uses_flat_scratch, 0
	.set _Z33kernel_cg_group_partition_dynamicjPibS_.has_dyn_sized_stack, 0
	.set _Z33kernel_cg_group_partition_dynamicjPibS_.has_recursion, 0
	.set _Z33kernel_cg_group_partition_dynamicjPibS_.has_indirect_call, 0
	.section	.AMDGPU.csdata,"",@progbits
; Kernel info:
; codeLenInByte = 25488
; TotalNumSgprs: 30
; NumVgprs: 38
; ScratchSize: 0
; MemoryBound: 0
; FloatMode: 240
; IeeeMode: 1
; LDSByteSize: 0 bytes/workgroup (compile time only)
; SGPRBlocks: 0
; VGPRBlocks: 4
; NumSGPRsForWavesPerEU: 30
; NumVGPRsForWavesPerEU: 38
; Occupancy: 16
; WaveLimiterHint : 1
; COMPUTE_PGM_RSRC2:SCRATCH_EN: 0
; COMPUTE_PGM_RSRC2:USER_SGPR: 6
; COMPUTE_PGM_RSRC2:TRAP_HANDLER: 0
; COMPUTE_PGM_RSRC2:TGID_X_EN: 1
; COMPUTE_PGM_RSRC2:TGID_Y_EN: 0
; COMPUTE_PGM_RSRC2:TGID_Z_EN: 0
; COMPUTE_PGM_RSRC2:TIDIG_COMP_CNT: 2
	.text
	.protected	_Z32kernel_cg_group_partition_nestedjjPibS_ ; -- Begin function _Z32kernel_cg_group_partition_nestedjjPibS_
	.globl	_Z32kernel_cg_group_partition_nestedjjPibS_
	.p2align	8
	.type	_Z32kernel_cg_group_partition_nestedjjPibS_,@function
_Z32kernel_cg_group_partition_nestedjjPibS_: ; @_Z32kernel_cg_group_partition_nestedjjPibS_
; %bb.0:
	s_load_dwordx2 s[6:7], s[4:5], 0x0
	s_mov_b32 s16, 0
	s_waitcnt lgkmcnt(0)
	s_cmp_eq_u32 s6, 0
	s_cselect_b32 s1, -1, 0
	s_and_b32 vcc_lo, exec_lo, s1
	s_cbranch_vccnz .LBB1_278
; %bb.1:
	s_add_i32 s0, s6, -1
	s_and_b32 s1, s6, s0
	s_cmp_eq_u32 s1, 0
	s_cselect_b32 s1, -1, 0
	s_cmp_lt_u32 s6, 33
	s_cselect_b32 s2, -1, 0
	s_and_b32 s2, s2, s1
	s_mov_b32 s1, -1
	s_and_b32 vcc_lo, exec_lo, s2
	s_cbranch_vccz .LBB1_278
; %bb.2:
	v_cvt_f32_u32_e32 v3, s6
	s_add_u32 s2, s4, 32
	s_addc_u32 s3, s5, 0
	s_cmp_eq_u32 s7, 0
	s_cselect_b32 s17, -1, 0
	v_rcp_iflag_f32_e32 v3, v3
	s_cmp_lg_u32 s7, 0
	v_mul_f32_e32 v3, 0x4f7ffffe, v3
	v_cvt_u32_f32_e32 v3, v3
	v_readfirstlane_b32 s1, v3
	s_cbranch_scc0 .LBB1_276
; %bb.3:
	s_add_i32 s8, s7, -1
	s_mov_b32 s17, -1
	s_and_b32 s8, s7, s8
	s_cmp_eq_u32 s8, 0
	s_cselect_b32 s8, -1, 0
	s_cmp_lt_u32 s7, 33
	s_cselect_b32 s9, -1, 0
	s_and_b32 s8, s9, s8
	s_and_b32 vcc_lo, exec_lo, s8
	s_cbranch_vccz .LBB1_276
; %bb.4:
	s_load_dwordx2 s[8:9], s[4:5], 0x2c
	s_sub_i32 s10, 0, s6
	s_mul_i32 s10, s10, s1
	s_mul_hi_u32 s10, s1, s10
	s_add_i32 s1, s1, s10
	s_waitcnt lgkmcnt(0)
	s_lshr_b32 s11, s8, 16
	s_and_b32 s8, s8, 0xffff
	s_and_b32 s9, s9, 0xffff
	s_mul_i32 s12, s11, s8
	v_mad_u32_u24 v1, v2, s11, v1
	s_mul_i32 s12, s12, s9
	s_add_i32 s9, s0, s12
	s_mul_hi_u32 s10, s9, s1
	v_mad_u64_u32 v[0:1], null, v1, s8, v[0:1]
	s_mul_i32 s13, s10, s6
	s_add_i32 s11, s10, 1
	s_sub_i32 s9, s9, s13
	s_sub_i32 s13, s9, s6
	s_cmp_ge_u32 s9, s6
	s_cselect_b32 s8, s11, s10
	s_cselect_b32 s9, s13, s9
	s_add_i32 s10, s8, 1
	s_cmp_ge_u32 s9, s6
	s_cselect_b32 s8, s10, s8
	s_mul_i32 s8, s8, s6
	s_sub_i32 s9, s8, s6
	s_sub_i32 s8, s12, s8
	v_cmp_le_u32_e32 vcc_lo, s9, v0
	s_cmp_gt_u32 s6, s7
	s_cselect_b32 s9, -1, 0
	v_cndmask_b32_e64 v1, 0, s8, vcc_lo
	s_min_u32 s8, s6, s7
	v_add_nc_u32_e32 v1, s6, v1
	v_cndmask_b32_e64 v8, v1, s7, s9
	v_mad_u64_u32 v[1:2], null, v0, s1, 0
	s_add_i32 s9, s8, -1
	v_mov_b32_e32 v1, v0
	v_and_b32_e32 v3, s9, v0
	s_mov_b32 s1, exec_lo
	v_cmpx_lt_u32_e32 1, v8
	s_cbranch_execz .LBB1_10
; %bb.5:
	s_clause 0x1
	s_load_dword s9, s[4:5], 0x10
	s_load_dwordx2 s[12:13], s[4:5], 0x18
	s_mov_b64 s[10:11], src_shared_base
	v_mov_b32_e32 v5, 0
	v_mov_b32_e32 v1, v0
	v_mov_b32_e32 v4, v5
	v_lshlrev_b64 v[11:12], 2, v[3:4]
	s_waitcnt lgkmcnt(0)
	s_and_b32 s9, 1, s9
	s_cmp_lg_u32 0, -1
	s_cselect_b32 s10, 0, 0
	s_cselect_b32 s11, s11, 0
	s_cmp_eq_u32 s9, 1
	s_cselect_b32 s9, s13, s11
	s_cselect_b32 s10, s12, s10
	s_sub_i32 s8, 0, s8
	v_and_b32_e32 v6, s8, v0
	s_mov_b32 s8, 0
	v_ashrrev_i32_e32 v7, 31, v6
	v_lshlrev_b64 v[6:7], 2, v[6:7]
	v_add_co_u32 v9, vcc_lo, s10, v6
	v_add_co_ci_u32_e64 v10, null, s9, v7, vcc_lo
	v_add_co_u32 v6, vcc_lo, v9, v11
	v_add_co_ci_u32_e64 v7, null, v10, v12, vcc_lo
	s_branch .LBB1_7
	.p2align	6
.LBB1_6:                                ;   in Loop: Header=BB1_7 Depth=1
	s_or_b32 exec_lo, exec_lo, s9
	v_cmp_gt_u32_e32 vcc_lo, 4, v8
	v_mov_b32_e32 v8, v11
	buffer_gl1_inv
	buffer_gl0_inv
	s_or_b32 s8, vcc_lo, s8
	s_andn2_b32 exec_lo, exec_lo, s8
	s_cbranch_execz .LBB1_9
.LBB1_7:                                ; =>This Inner Loop Header: Depth=1
	v_lshrrev_b32_e32 v11, 1, v8
	s_mov_b32 s9, exec_lo
	flat_store_dword v[6:7], v1
	s_waitcnt lgkmcnt(0)
	s_waitcnt_vscnt null, 0x0
	buffer_gl1_inv
	buffer_gl0_inv
	v_cmpx_lt_i32_e64 v3, v11
	s_cbranch_execz .LBB1_6
; %bb.8:                                ;   in Loop: Header=BB1_7 Depth=1
	v_add_nc_u32_e32 v4, v11, v3
	v_lshlrev_b64 v[12:13], 2, v[4:5]
	v_add_co_u32 v12, vcc_lo, v9, v12
	v_add_co_ci_u32_e64 v13, null, v10, v13, vcc_lo
	flat_load_dword v4, v[12:13]
	s_waitcnt vmcnt(0) lgkmcnt(0)
	v_add_nc_u32_e32 v1, v4, v1
	s_branch .LBB1_6
.LBB1_9:
	s_or_b32 exec_lo, exec_lo, s8
.LBB1_10:
	s_or_b32 exec_lo, exec_lo, s1
	v_cmp_eq_u32_e32 vcc_lo, 0, v3
	s_mov_b32 s17, 0
	s_and_saveexec_b32 s18, vcc_lo
	s_cbranch_execz .LBB1_275
; %bb.11:
	v_cvt_f32_u32_e32 v3, s7
	s_sub_i32 s8, 0, s7
	v_and_b32_e32 v4, s0, v0
	v_mbcnt_lo_u32_b32 v33, -1, 0
	v_rcp_iflag_f32_e32 v3, v3
	v_mul_f32_e32 v3, 0x4f7ffffe, v3
	v_cvt_u32_f32_e32 v3, v3
	v_readfirstlane_b32 s1, v3
	v_mul_lo_u32 v3, v2, s6
	s_mul_i32 s8, s8, s1
	s_mul_hi_u32 s0, s1, s8
	v_sub_nc_u32_e32 v0, v0, v3
	s_add_i32 s1, s1, s0
	v_add_nc_u32_e32 v3, 1, v2
	v_mul_hi_u32 v5, v4, s1
	s_mul_hi_u32 s1, s6, s1
	v_cmp_le_u32_e64 s0, s6, v0
	v_subrev_nc_u32_e32 v6, s6, v0
	s_mul_i32 s8, s1, s7
	s_add_i32 s9, s1, 1
	s_sub_i32 s8, s6, s8
	v_cndmask_b32_e64 v2, v2, v3, s0
	v_mul_lo_u32 v7, v5, s7
	v_cndmask_b32_e64 v0, v0, v6, s0
	v_add_nc_u32_e32 v6, 1, v5
	s_sub_i32 s10, s8, s7
	v_add_nc_u32_e32 v3, 1, v2
	s_cmp_ge_u32 s8, s7
	v_cmp_le_u32_e64 s0, s6, v0
	s_cselect_b32 s9, s9, s1
	v_sub_nc_u32_e32 v4, v4, v7
	s_cselect_b32 s1, s10, s8
	s_add_i32 s8, s9, 1
	v_cndmask_b32_e64 v34, v2, v3, s0
	s_cmp_ge_u32 s1, s7
	v_subrev_nc_u32_e32 v0, s7, v4
	v_cmp_le_u32_e64 s0, s7, v4
	v_cndmask_b32_e64 v2, v5, v6, s0
	v_cndmask_b32_e64 v0, v4, v0, s0
	v_add_nc_u32_e32 v3, 1, v2
	v_cmp_le_u32_e64 s0, s7, v0
	v_cndmask_b32_e64 v5, v2, v3, s0
	s_load_dwordx2 s[0:1], s[4:5], 0x8
	s_cselect_b32 s4, s8, s9
	v_mad_u64_u32 v[2:3], null, s4, v34, v[5:6]
	v_ashrrev_i32_e32 v3, 31, v2
	v_lshlrev_b64 v[3:4], 2, v[2:3]
	v_cndmask_b32_e32 v2, -1, v1, vcc_lo
	s_waitcnt lgkmcnt(0)
	v_add_co_u32 v0, vcc_lo, s0, v3
	v_add_co_ci_u32_e64 v1, null, s1, v4, vcc_lo
	v_readfirstlane_b32 s0, v33
	global_store_dword v[0:1], v2, off
	s_load_dwordx2 s[2:3], s[2:3], 0x50
	v_mov_b32_e32 v0, 0
	v_mov_b32_e32 v1, 0
	v_cmp_eq_u32_e64 s0, s0, v33
	s_and_saveexec_b32 s1, s0
	s_cbranch_execz .LBB1_17
; %bb.12:
	v_mov_b32_e32 v3, 0
	s_mov_b32 s4, exec_lo
	s_waitcnt lgkmcnt(0)
	global_load_dwordx2 v[8:9], v3, s[2:3] offset:24 glc dlc
	s_waitcnt vmcnt(0)
	buffer_gl1_inv
	buffer_gl0_inv
	s_clause 0x1
	global_load_dwordx2 v[0:1], v3, s[2:3] offset:40
	global_load_dwordx2 v[6:7], v3, s[2:3]
	s_waitcnt vmcnt(1)
	v_and_b32_e32 v1, v1, v9
	v_and_b32_e32 v0, v0, v8
	v_mul_lo_u32 v1, v1, 24
	v_mul_hi_u32 v4, v0, 24
	v_mul_lo_u32 v0, v0, 24
	v_add_nc_u32_e32 v1, v4, v1
	s_waitcnt vmcnt(0)
	v_add_co_u32 v0, vcc_lo, v6, v0
	v_add_co_ci_u32_e64 v1, null, v7, v1, vcc_lo
	global_load_dwordx2 v[6:7], v[0:1], off glc dlc
	s_waitcnt vmcnt(0)
	global_atomic_cmpswap_x2 v[0:1], v3, v[6:9], s[2:3] offset:24 glc
	s_waitcnt vmcnt(0)
	buffer_gl1_inv
	buffer_gl0_inv
	v_cmpx_ne_u64_e64 v[0:1], v[8:9]
	s_cbranch_execz .LBB1_16
; %bb.13:
	s_mov_b32 s5, 0
	.p2align	6
.LBB1_14:                               ; =>This Inner Loop Header: Depth=1
	s_sleep 1
	s_clause 0x1
	global_load_dwordx2 v[6:7], v3, s[2:3] offset:40
	global_load_dwordx2 v[10:11], v3, s[2:3]
	v_mov_b32_e32 v9, v1
	v_mov_b32_e32 v8, v0
	s_waitcnt vmcnt(1)
	v_and_b32_e32 v0, v6, v8
	v_and_b32_e32 v4, v7, v9
	s_waitcnt vmcnt(0)
	v_mad_u64_u32 v[0:1], null, v0, 24, v[10:11]
	v_mad_u64_u32 v[6:7], null, v4, 24, v[1:2]
	v_mov_b32_e32 v1, v6
	global_load_dwordx2 v[6:7], v[0:1], off glc dlc
	s_waitcnt vmcnt(0)
	global_atomic_cmpswap_x2 v[0:1], v3, v[6:9], s[2:3] offset:24 glc
	s_waitcnt vmcnt(0)
	buffer_gl1_inv
	buffer_gl0_inv
	v_cmp_eq_u64_e32 vcc_lo, v[0:1], v[8:9]
	s_or_b32 s5, vcc_lo, s5
	s_andn2_b32 exec_lo, exec_lo, s5
	s_cbranch_execnz .LBB1_14
; %bb.15:
	s_or_b32 exec_lo, exec_lo, s5
.LBB1_16:
	s_or_b32 exec_lo, exec_lo, s4
.LBB1_17:
	s_or_b32 exec_lo, exec_lo, s1
	v_mov_b32_e32 v11, 0
	v_readfirstlane_b32 s5, v1
	v_readfirstlane_b32 s4, v0
	s_mov_b32 s1, exec_lo
	s_waitcnt lgkmcnt(0)
	s_clause 0x1
	global_load_dwordx2 v[3:4], v11, s[2:3] offset:40
	global_load_dwordx4 v[6:9], v11, s[2:3]
	s_waitcnt vmcnt(1)
	v_readfirstlane_b32 s8, v3
	v_readfirstlane_b32 s9, v4
	s_and_b64 s[8:9], s[8:9], s[4:5]
	s_mul_i32 s10, s9, 24
	s_mul_hi_u32 s11, s8, 24
	s_mul_i32 s12, s8, 24
	s_add_i32 s11, s11, s10
	s_waitcnt vmcnt(0)
	v_add_co_u32 v0, vcc_lo, v6, s12
	v_add_co_ci_u32_e64 v1, null, s11, v7, vcc_lo
	s_and_saveexec_b32 s10, s0
	s_cbranch_execz .LBB1_19
; %bb.18:
	v_mov_b32_e32 v10, s1
	v_mov_b32_e32 v12, 2
	;; [unrolled: 1-line block ×3, first 2 shown]
	global_store_dwordx4 v[0:1], v[10:13], off offset:8
.LBB1_19:
	s_or_b32 exec_lo, exec_lo, s10
	s_lshl_b64 s[8:9], s[8:9], 12
	v_lshlrev_b32_e32 v32, 6, v33
	v_add_co_u32 v3, vcc_lo, v8, s8
	v_add_co_ci_u32_e64 v4, null, s9, v9, vcc_lo
	s_mov_b32 s8, 0
	v_readfirstlane_b32 s12, v3
	s_mov_b32 s11, s8
	v_add_co_u32 v3, vcc_lo, v3, v32
	s_mov_b32 s9, s8
	s_mov_b32 s10, s8
	v_mov_b32_e32 v10, 33
	v_mov_b32_e32 v12, v11
	;; [unrolled: 1-line block ×3, first 2 shown]
	v_readfirstlane_b32 s13, v4
	v_mov_b32_e32 v17, s11
	v_add_co_ci_u32_e64 v4, null, 0, v4, vcc_lo
	v_mov_b32_e32 v16, s10
	v_mov_b32_e32 v15, s9
	;; [unrolled: 1-line block ×3, first 2 shown]
	global_store_dwordx4 v32, v[10:13], s[12:13]
	global_store_dwordx4 v32, v[14:17], s[12:13] offset:16
	global_store_dwordx4 v32, v[14:17], s[12:13] offset:32
	global_store_dwordx4 v32, v[14:17], s[12:13] offset:48
	s_and_saveexec_b32 s1, s0
	s_cbranch_execz .LBB1_27
; %bb.20:
	v_mov_b32_e32 v12, 0
	v_mov_b32_e32 v13, s4
	;; [unrolled: 1-line block ×3, first 2 shown]
	s_mov_b32 s8, exec_lo
	s_clause 0x1
	global_load_dwordx2 v[15:16], v12, s[2:3] offset:32 glc dlc
	global_load_dwordx2 v[8:9], v12, s[2:3] offset:40
	s_waitcnt vmcnt(0)
	v_and_b32_e32 v9, s5, v9
	v_and_b32_e32 v8, s4, v8
	v_mul_lo_u32 v9, v9, 24
	v_mul_hi_u32 v10, v8, 24
	v_mul_lo_u32 v8, v8, 24
	v_add_nc_u32_e32 v9, v10, v9
	v_add_co_u32 v10, vcc_lo, v6, v8
	v_add_co_ci_u32_e64 v11, null, v7, v9, vcc_lo
	global_store_dwordx2 v[10:11], v[15:16], off
	s_waitcnt_vscnt null, 0x0
	global_atomic_cmpswap_x2 v[8:9], v12, v[13:16], s[2:3] offset:32 glc
	s_waitcnt vmcnt(0)
	v_cmpx_ne_u64_e64 v[8:9], v[15:16]
	s_cbranch_execz .LBB1_23
; %bb.21:
	s_mov_b32 s9, 0
.LBB1_22:                               ; =>This Inner Loop Header: Depth=1
	v_mov_b32_e32 v6, s4
	v_mov_b32_e32 v7, s5
	s_sleep 1
	global_store_dwordx2 v[10:11], v[8:9], off
	s_waitcnt_vscnt null, 0x0
	global_atomic_cmpswap_x2 v[6:7], v12, v[6:9], s[2:3] offset:32 glc
	s_waitcnt vmcnt(0)
	v_cmp_eq_u64_e32 vcc_lo, v[6:7], v[8:9]
	v_mov_b32_e32 v9, v7
	v_mov_b32_e32 v8, v6
	s_or_b32 s9, vcc_lo, s9
	s_andn2_b32 exec_lo, exec_lo, s9
	s_cbranch_execnz .LBB1_22
.LBB1_23:
	s_or_b32 exec_lo, exec_lo, s8
	v_mov_b32_e32 v9, 0
	s_mov_b32 s9, exec_lo
	s_mov_b32 s8, exec_lo
	v_mbcnt_lo_u32_b32 v8, s9, 0
	global_load_dwordx2 v[6:7], v9, s[2:3] offset:16
	v_cmpx_eq_u32_e32 0, v8
	s_cbranch_execz .LBB1_25
; %bb.24:
	s_bcnt1_i32_b32 s9, s9
	v_mov_b32_e32 v8, s9
	s_waitcnt vmcnt(0)
	global_atomic_add_x2 v[6:7], v[8:9], off offset:8
.LBB1_25:
	s_or_b32 exec_lo, exec_lo, s8
	s_waitcnt vmcnt(0)
	global_load_dwordx2 v[8:9], v[6:7], off offset:16
	s_waitcnt vmcnt(0)
	v_cmp_eq_u64_e32 vcc_lo, 0, v[8:9]
	s_cbranch_vccnz .LBB1_27
; %bb.26:
	global_load_dword v6, v[6:7], off offset:24
	v_mov_b32_e32 v7, 0
	s_waitcnt vmcnt(0)
	v_readfirstlane_b32 s8, v6
	s_waitcnt_vscnt null, 0x0
	global_store_dwordx2 v[8:9], v[6:7], off
	s_and_b32 m0, s8, 0x7fffff
	s_sendmsg sendmsg(MSG_INTERRUPT)
.LBB1_27:
	s_or_b32 exec_lo, exec_lo, s1
	s_branch .LBB1_31
	.p2align	6
.LBB1_28:                               ;   in Loop: Header=BB1_31 Depth=1
	s_or_b32 exec_lo, exec_lo, s1
	v_readfirstlane_b32 s1, v6
	s_cmp_eq_u32 s1, 0
	s_cbranch_scc1 .LBB1_30
; %bb.29:                               ;   in Loop: Header=BB1_31 Depth=1
	s_sleep 1
	s_cbranch_execnz .LBB1_31
	s_branch .LBB1_33
	.p2align	6
.LBB1_30:
	s_branch .LBB1_33
.LBB1_31:                               ; =>This Inner Loop Header: Depth=1
	v_mov_b32_e32 v6, 1
	s_and_saveexec_b32 s1, s0
	s_cbranch_execz .LBB1_28
; %bb.32:                               ;   in Loop: Header=BB1_31 Depth=1
	global_load_dword v6, v[0:1], off offset:20 glc dlc
	s_waitcnt vmcnt(0)
	buffer_gl1_inv
	buffer_gl0_inv
	v_and_b32_e32 v6, 1, v6
	s_branch .LBB1_28
.LBB1_33:
	global_load_dwordx2 v[6:7], v[3:4], off
	s_and_saveexec_b32 s8, s0
	s_cbranch_execz .LBB1_37
; %bb.34:
	v_mov_b32_e32 v3, 0
	s_clause 0x2
	global_load_dwordx2 v[0:1], v3, s[2:3] offset:40
	global_load_dwordx2 v[12:13], v3, s[2:3] offset:24 glc dlc
	global_load_dwordx2 v[8:9], v3, s[2:3]
	s_waitcnt vmcnt(2)
	v_readfirstlane_b32 s10, v0
	v_readfirstlane_b32 s11, v1
	s_add_u32 s9, s10, 1
	s_addc_u32 s12, s11, 0
	s_add_u32 s0, s9, s4
	s_addc_u32 s1, s12, s5
	s_cmp_eq_u64 s[0:1], 0
	s_cselect_b32 s1, s12, s1
	s_cselect_b32 s0, s9, s0
	v_mov_b32_e32 v11, s1
	s_and_b64 s[4:5], s[0:1], s[10:11]
	v_mov_b32_e32 v10, s0
	s_mul_i32 s5, s5, 24
	s_mul_hi_u32 s9, s4, 24
	s_mul_i32 s4, s4, 24
	s_add_i32 s9, s9, s5
	s_waitcnt vmcnt(0)
	v_add_co_u32 v0, vcc_lo, v8, s4
	v_add_co_ci_u32_e64 v1, null, s9, v9, vcc_lo
	global_store_dwordx2 v[0:1], v[12:13], off
	s_waitcnt_vscnt null, 0x0
	global_atomic_cmpswap_x2 v[10:11], v3, v[10:13], s[2:3] offset:24 glc
	s_waitcnt vmcnt(0)
	v_cmp_ne_u64_e32 vcc_lo, v[10:11], v[12:13]
	s_and_b32 exec_lo, exec_lo, vcc_lo
	s_cbranch_execz .LBB1_37
; %bb.35:
	s_mov_b32 s4, 0
.LBB1_36:                               ; =>This Inner Loop Header: Depth=1
	v_mov_b32_e32 v8, s0
	v_mov_b32_e32 v9, s1
	s_sleep 1
	global_store_dwordx2 v[0:1], v[10:11], off
	s_waitcnt_vscnt null, 0x0
	global_atomic_cmpswap_x2 v[8:9], v3, v[8:11], s[2:3] offset:24 glc
	s_waitcnt vmcnt(0)
	v_cmp_eq_u64_e32 vcc_lo, v[8:9], v[10:11]
	v_mov_b32_e32 v11, v9
	v_mov_b32_e32 v10, v8
	s_or_b32 s4, vcc_lo, s4
	s_andn2_b32 exec_lo, exec_lo, s4
	s_cbranch_execnz .LBB1_36
.LBB1_37:
	s_or_b32 exec_lo, exec_lo, s8
	s_getpc_b64 s[4:5]
	s_add_u32 s4, s4, .str.3@rel32@lo+4
	s_addc_u32 s5, s5, .str.3@rel32@hi+12
	s_cmp_lg_u64 s[4:5], 0
	s_cbranch_scc0 .LBB1_116
; %bb.38:
	s_waitcnt vmcnt(0)
	v_and_b32_e32 v35, 2, v6
	v_mov_b32_e32 v13, 0
	v_and_b32_e32 v8, -3, v6
	v_mov_b32_e32 v9, v7
	v_mov_b32_e32 v14, 2
	;; [unrolled: 1-line block ×3, first 2 shown]
	s_mov_b64 s[8:9], 0x43
	s_branch .LBB1_40
.LBB1_39:                               ;   in Loop: Header=BB1_40 Depth=1
	s_or_b32 exec_lo, exec_lo, s14
	s_sub_u32 s8, s8, s10
	s_subb_u32 s9, s9, s11
	s_add_u32 s4, s4, s10
	s_addc_u32 s5, s5, s11
	s_cmp_lg_u64 s[8:9], 0
	s_cbranch_scc0 .LBB1_115
.LBB1_40:                               ; =>This Loop Header: Depth=1
                                        ;     Child Loop BB1_43 Depth 2
                                        ;     Child Loop BB1_50 Depth 2
	;; [unrolled: 1-line block ×11, first 2 shown]
	v_cmp_lt_u64_e64 s0, s[8:9], 56
	v_cmp_gt_u64_e64 s12, s[8:9], 7
	s_and_b32 s0, s0, exec_lo
	s_cselect_b32 s11, s9, 0
	s_cselect_b32 s10, s8, 56
	s_add_u32 s0, s4, 8
	s_addc_u32 s1, s5, 0
	s_and_b32 vcc_lo, exec_lo, s12
	s_cbranch_vccnz .LBB1_45
; %bb.41:                               ;   in Loop: Header=BB1_40 Depth=1
	v_mov_b32_e32 v10, 0
	v_mov_b32_e32 v11, 0
	s_cmp_eq_u64 s[8:9], 0
	s_cbranch_scc1 .LBB1_44
; %bb.42:                               ;   in Loop: Header=BB1_40 Depth=1
	s_lshl_b64 s[0:1], s[10:11], 3
	s_mov_b64 s[12:13], 0
	s_mov_b64 s[14:15], s[4:5]
.LBB1_43:                               ;   Parent Loop BB1_40 Depth=1
                                        ; =>  This Inner Loop Header: Depth=2
	global_load_ubyte v0, v13, s[14:15]
	s_waitcnt vmcnt(0)
	v_and_b32_e32 v12, 0xffff, v0
	v_lshlrev_b64 v[0:1], s12, v[12:13]
	s_add_u32 s12, s12, 8
	s_addc_u32 s13, s13, 0
	s_add_u32 s14, s14, 1
	s_addc_u32 s15, s15, 0
	s_cmp_lg_u32 s0, s12
	v_or_b32_e32 v10, v0, v10
	v_or_b32_e32 v11, v1, v11
	s_cbranch_scc1 .LBB1_43
.LBB1_44:                               ;   in Loop: Header=BB1_40 Depth=1
	s_mov_b64 s[0:1], s[4:5]
	s_mov_b32 s19, 0
	s_cbranch_execz .LBB1_46
	s_branch .LBB1_47
.LBB1_45:                               ;   in Loop: Header=BB1_40 Depth=1
	s_mov_b32 s19, 0
.LBB1_46:                               ;   in Loop: Header=BB1_40 Depth=1
	global_load_dwordx2 v[10:11], v13, s[4:5]
	s_add_i32 s19, s10, -8
.LBB1_47:                               ;   in Loop: Header=BB1_40 Depth=1
	s_add_u32 s12, s0, 8
	s_addc_u32 s13, s1, 0
	s_cmp_gt_u32 s19, 7
	s_cbranch_scc1 .LBB1_52
; %bb.48:                               ;   in Loop: Header=BB1_40 Depth=1
	v_mov_b32_e32 v16, 0
	v_mov_b32_e32 v17, 0
	s_cmp_eq_u32 s19, 0
	s_cbranch_scc1 .LBB1_51
; %bb.49:                               ;   in Loop: Header=BB1_40 Depth=1
	s_mov_b64 s[12:13], 0
	s_mov_b64 s[14:15], 0
.LBB1_50:                               ;   Parent Loop BB1_40 Depth=1
                                        ; =>  This Inner Loop Header: Depth=2
	s_add_u32 s20, s0, s14
	s_addc_u32 s21, s1, s15
	s_add_u32 s14, s14, 1
	global_load_ubyte v0, v13, s[20:21]
	s_addc_u32 s15, s15, 0
	s_waitcnt vmcnt(0)
	v_and_b32_e32 v12, 0xffff, v0
	v_lshlrev_b64 v[0:1], s12, v[12:13]
	s_add_u32 s12, s12, 8
	s_addc_u32 s13, s13, 0
	s_cmp_lg_u32 s19, s14
	v_or_b32_e32 v16, v0, v16
	v_or_b32_e32 v17, v1, v17
	s_cbranch_scc1 .LBB1_50
.LBB1_51:                               ;   in Loop: Header=BB1_40 Depth=1
	s_mov_b64 s[12:13], s[0:1]
	s_mov_b32 s20, 0
	s_cbranch_execz .LBB1_53
	s_branch .LBB1_54
.LBB1_52:                               ;   in Loop: Header=BB1_40 Depth=1
                                        ; implicit-def: $vgpr16_vgpr17
	s_mov_b32 s20, 0
.LBB1_53:                               ;   in Loop: Header=BB1_40 Depth=1
	global_load_dwordx2 v[16:17], v13, s[0:1]
	s_add_i32 s20, s19, -8
.LBB1_54:                               ;   in Loop: Header=BB1_40 Depth=1
	s_add_u32 s0, s12, 8
	s_addc_u32 s1, s13, 0
	s_cmp_gt_u32 s20, 7
	s_cbranch_scc1 .LBB1_59
; %bb.55:                               ;   in Loop: Header=BB1_40 Depth=1
	v_mov_b32_e32 v18, 0
	v_mov_b32_e32 v19, 0
	s_cmp_eq_u32 s20, 0
	s_cbranch_scc1 .LBB1_58
; %bb.56:                               ;   in Loop: Header=BB1_40 Depth=1
	s_mov_b64 s[0:1], 0
	s_mov_b64 s[14:15], 0
.LBB1_57:                               ;   Parent Loop BB1_40 Depth=1
                                        ; =>  This Inner Loop Header: Depth=2
	s_add_u32 s22, s12, s14
	s_addc_u32 s23, s13, s15
	s_add_u32 s14, s14, 1
	global_load_ubyte v0, v13, s[22:23]
	s_addc_u32 s15, s15, 0
	s_waitcnt vmcnt(0)
	v_and_b32_e32 v12, 0xffff, v0
	v_lshlrev_b64 v[0:1], s0, v[12:13]
	s_add_u32 s0, s0, 8
	s_addc_u32 s1, s1, 0
	s_cmp_lg_u32 s20, s14
	v_or_b32_e32 v18, v0, v18
	v_or_b32_e32 v19, v1, v19
	s_cbranch_scc1 .LBB1_57
.LBB1_58:                               ;   in Loop: Header=BB1_40 Depth=1
	s_mov_b64 s[0:1], s[12:13]
	s_mov_b32 s19, 0
	s_cbranch_execz .LBB1_60
	s_branch .LBB1_61
.LBB1_59:                               ;   in Loop: Header=BB1_40 Depth=1
	s_mov_b32 s19, 0
.LBB1_60:                               ;   in Loop: Header=BB1_40 Depth=1
	global_load_dwordx2 v[18:19], v13, s[12:13]
	s_add_i32 s19, s20, -8
.LBB1_61:                               ;   in Loop: Header=BB1_40 Depth=1
	s_add_u32 s12, s0, 8
	s_addc_u32 s13, s1, 0
	s_cmp_gt_u32 s19, 7
	s_cbranch_scc1 .LBB1_66
; %bb.62:                               ;   in Loop: Header=BB1_40 Depth=1
	v_mov_b32_e32 v20, 0
	v_mov_b32_e32 v21, 0
	s_cmp_eq_u32 s19, 0
	s_cbranch_scc1 .LBB1_65
; %bb.63:                               ;   in Loop: Header=BB1_40 Depth=1
	s_mov_b64 s[12:13], 0
	s_mov_b64 s[14:15], 0
.LBB1_64:                               ;   Parent Loop BB1_40 Depth=1
                                        ; =>  This Inner Loop Header: Depth=2
	s_add_u32 s20, s0, s14
	s_addc_u32 s21, s1, s15
	s_add_u32 s14, s14, 1
	global_load_ubyte v0, v13, s[20:21]
	s_addc_u32 s15, s15, 0
	s_waitcnt vmcnt(0)
	v_and_b32_e32 v12, 0xffff, v0
	v_lshlrev_b64 v[0:1], s12, v[12:13]
	s_add_u32 s12, s12, 8
	s_addc_u32 s13, s13, 0
	s_cmp_lg_u32 s19, s14
	v_or_b32_e32 v20, v0, v20
	v_or_b32_e32 v21, v1, v21
	s_cbranch_scc1 .LBB1_64
.LBB1_65:                               ;   in Loop: Header=BB1_40 Depth=1
	s_mov_b64 s[12:13], s[0:1]
	s_mov_b32 s20, 0
	s_cbranch_execz .LBB1_67
	s_branch .LBB1_68
.LBB1_66:                               ;   in Loop: Header=BB1_40 Depth=1
                                        ; implicit-def: $vgpr20_vgpr21
	s_mov_b32 s20, 0
.LBB1_67:                               ;   in Loop: Header=BB1_40 Depth=1
	global_load_dwordx2 v[20:21], v13, s[0:1]
	s_add_i32 s20, s19, -8
.LBB1_68:                               ;   in Loop: Header=BB1_40 Depth=1
	s_add_u32 s0, s12, 8
	s_addc_u32 s1, s13, 0
	s_cmp_gt_u32 s20, 7
	s_cbranch_scc1 .LBB1_73
; %bb.69:                               ;   in Loop: Header=BB1_40 Depth=1
	v_mov_b32_e32 v22, 0
	v_mov_b32_e32 v23, 0
	s_cmp_eq_u32 s20, 0
	s_cbranch_scc1 .LBB1_72
; %bb.70:                               ;   in Loop: Header=BB1_40 Depth=1
	s_mov_b64 s[0:1], 0
	s_mov_b64 s[14:15], 0
.LBB1_71:                               ;   Parent Loop BB1_40 Depth=1
                                        ; =>  This Inner Loop Header: Depth=2
	s_add_u32 s22, s12, s14
	s_addc_u32 s23, s13, s15
	s_add_u32 s14, s14, 1
	global_load_ubyte v0, v13, s[22:23]
	s_addc_u32 s15, s15, 0
	s_waitcnt vmcnt(0)
	v_and_b32_e32 v12, 0xffff, v0
	v_lshlrev_b64 v[0:1], s0, v[12:13]
	s_add_u32 s0, s0, 8
	s_addc_u32 s1, s1, 0
	s_cmp_lg_u32 s20, s14
	v_or_b32_e32 v22, v0, v22
	v_or_b32_e32 v23, v1, v23
	s_cbranch_scc1 .LBB1_71
.LBB1_72:                               ;   in Loop: Header=BB1_40 Depth=1
	s_mov_b64 s[0:1], s[12:13]
	s_mov_b32 s19, 0
	s_cbranch_execz .LBB1_74
	s_branch .LBB1_75
.LBB1_73:                               ;   in Loop: Header=BB1_40 Depth=1
	s_mov_b32 s19, 0
.LBB1_74:                               ;   in Loop: Header=BB1_40 Depth=1
	global_load_dwordx2 v[22:23], v13, s[12:13]
	s_add_i32 s19, s20, -8
.LBB1_75:                               ;   in Loop: Header=BB1_40 Depth=1
	s_add_u32 s12, s0, 8
	s_addc_u32 s13, s1, 0
	s_cmp_gt_u32 s19, 7
	s_cbranch_scc1 .LBB1_80
; %bb.76:                               ;   in Loop: Header=BB1_40 Depth=1
	v_mov_b32_e32 v24, 0
	v_mov_b32_e32 v25, 0
	s_cmp_eq_u32 s19, 0
	s_cbranch_scc1 .LBB1_79
; %bb.77:                               ;   in Loop: Header=BB1_40 Depth=1
	s_mov_b64 s[12:13], 0
	s_mov_b64 s[14:15], 0
.LBB1_78:                               ;   Parent Loop BB1_40 Depth=1
                                        ; =>  This Inner Loop Header: Depth=2
	s_add_u32 s20, s0, s14
	s_addc_u32 s21, s1, s15
	s_add_u32 s14, s14, 1
	global_load_ubyte v0, v13, s[20:21]
	s_addc_u32 s15, s15, 0
	s_waitcnt vmcnt(0)
	v_and_b32_e32 v12, 0xffff, v0
	v_lshlrev_b64 v[0:1], s12, v[12:13]
	s_add_u32 s12, s12, 8
	s_addc_u32 s13, s13, 0
	s_cmp_lg_u32 s19, s14
	v_or_b32_e32 v24, v0, v24
	v_or_b32_e32 v25, v1, v25
	s_cbranch_scc1 .LBB1_78
.LBB1_79:                               ;   in Loop: Header=BB1_40 Depth=1
	s_mov_b64 s[12:13], s[0:1]
	s_mov_b32 s20, 0
	s_cbranch_execz .LBB1_81
	s_branch .LBB1_82
.LBB1_80:                               ;   in Loop: Header=BB1_40 Depth=1
                                        ; implicit-def: $vgpr24_vgpr25
	s_mov_b32 s20, 0
.LBB1_81:                               ;   in Loop: Header=BB1_40 Depth=1
	global_load_dwordx2 v[24:25], v13, s[0:1]
	s_add_i32 s20, s19, -8
.LBB1_82:                               ;   in Loop: Header=BB1_40 Depth=1
	s_cmp_gt_u32 s20, 7
	s_cbranch_scc1 .LBB1_87
; %bb.83:                               ;   in Loop: Header=BB1_40 Depth=1
	v_mov_b32_e32 v26, 0
	v_mov_b32_e32 v27, 0
	s_cmp_eq_u32 s20, 0
	s_cbranch_scc1 .LBB1_86
; %bb.84:                               ;   in Loop: Header=BB1_40 Depth=1
	s_mov_b64 s[0:1], 0
	s_mov_b64 s[14:15], s[12:13]
.LBB1_85:                               ;   Parent Loop BB1_40 Depth=1
                                        ; =>  This Inner Loop Header: Depth=2
	global_load_ubyte v0, v13, s[14:15]
	s_add_i32 s20, s20, -1
	s_waitcnt vmcnt(0)
	v_and_b32_e32 v12, 0xffff, v0
	v_lshlrev_b64 v[0:1], s0, v[12:13]
	s_add_u32 s0, s0, 8
	s_addc_u32 s1, s1, 0
	s_add_u32 s14, s14, 1
	s_addc_u32 s15, s15, 0
	s_cmp_lg_u32 s20, 0
	v_or_b32_e32 v26, v0, v26
	v_or_b32_e32 v27, v1, v27
	s_cbranch_scc1 .LBB1_85
.LBB1_86:                               ;   in Loop: Header=BB1_40 Depth=1
	s_cbranch_execz .LBB1_88
	s_branch .LBB1_89
.LBB1_87:                               ;   in Loop: Header=BB1_40 Depth=1
.LBB1_88:                               ;   in Loop: Header=BB1_40 Depth=1
	global_load_dwordx2 v[26:27], v13, s[12:13]
.LBB1_89:                               ;   in Loop: Header=BB1_40 Depth=1
	v_readfirstlane_b32 s0, v33
	v_mov_b32_e32 v0, 0
	v_mov_b32_e32 v1, 0
	v_cmp_eq_u32_e64 s0, s0, v33
	s_and_saveexec_b32 s1, s0
	s_cbranch_execz .LBB1_95
; %bb.90:                               ;   in Loop: Header=BB1_40 Depth=1
	global_load_dwordx2 v[30:31], v13, s[2:3] offset:24 glc dlc
	s_waitcnt vmcnt(0)
	buffer_gl1_inv
	buffer_gl0_inv
	s_clause 0x1
	global_load_dwordx2 v[0:1], v13, s[2:3] offset:40
	global_load_dwordx2 v[3:4], v13, s[2:3]
	s_mov_b32 s12, exec_lo
	s_waitcnt vmcnt(1)
	v_and_b32_e32 v1, v1, v31
	v_and_b32_e32 v0, v0, v30
	v_mul_lo_u32 v1, v1, 24
	v_mul_hi_u32 v12, v0, 24
	v_mul_lo_u32 v0, v0, 24
	v_add_nc_u32_e32 v1, v12, v1
	s_waitcnt vmcnt(0)
	v_add_co_u32 v0, vcc_lo, v3, v0
	v_add_co_ci_u32_e64 v1, null, v4, v1, vcc_lo
	global_load_dwordx2 v[28:29], v[0:1], off glc dlc
	s_waitcnt vmcnt(0)
	global_atomic_cmpswap_x2 v[0:1], v13, v[28:31], s[2:3] offset:24 glc
	s_waitcnt vmcnt(0)
	buffer_gl1_inv
	buffer_gl0_inv
	v_cmpx_ne_u64_e64 v[0:1], v[30:31]
	s_cbranch_execz .LBB1_94
; %bb.91:                               ;   in Loop: Header=BB1_40 Depth=1
	s_mov_b32 s13, 0
	.p2align	6
.LBB1_92:                               ;   Parent Loop BB1_40 Depth=1
                                        ; =>  This Inner Loop Header: Depth=2
	s_sleep 1
	s_clause 0x1
	global_load_dwordx2 v[3:4], v13, s[2:3] offset:40
	global_load_dwordx2 v[28:29], v13, s[2:3]
	v_mov_b32_e32 v31, v1
	v_mov_b32_e32 v30, v0
	s_waitcnt vmcnt(1)
	v_and_b32_e32 v0, v3, v30
	v_and_b32_e32 v3, v4, v31
	s_waitcnt vmcnt(0)
	v_mad_u64_u32 v[0:1], null, v0, 24, v[28:29]
	v_mad_u64_u32 v[3:4], null, v3, 24, v[1:2]
	v_mov_b32_e32 v1, v3
	global_load_dwordx2 v[28:29], v[0:1], off glc dlc
	s_waitcnt vmcnt(0)
	global_atomic_cmpswap_x2 v[0:1], v13, v[28:31], s[2:3] offset:24 glc
	s_waitcnt vmcnt(0)
	buffer_gl1_inv
	buffer_gl0_inv
	v_cmp_eq_u64_e32 vcc_lo, v[0:1], v[30:31]
	s_or_b32 s13, vcc_lo, s13
	s_andn2_b32 exec_lo, exec_lo, s13
	s_cbranch_execnz .LBB1_92
; %bb.93:                               ;   in Loop: Header=BB1_40 Depth=1
	s_or_b32 exec_lo, exec_lo, s13
.LBB1_94:                               ;   in Loop: Header=BB1_40 Depth=1
	s_or_b32 exec_lo, exec_lo, s12
.LBB1_95:                               ;   in Loop: Header=BB1_40 Depth=1
	s_or_b32 exec_lo, exec_lo, s1
	s_clause 0x1
	global_load_dwordx2 v[3:4], v13, s[2:3] offset:40
	global_load_dwordx4 v[28:31], v13, s[2:3]
	v_readfirstlane_b32 s13, v1
	v_readfirstlane_b32 s12, v0
	s_mov_b32 s1, exec_lo
	s_waitcnt vmcnt(1)
	v_readfirstlane_b32 s14, v3
	v_readfirstlane_b32 s15, v4
	s_and_b64 s[14:15], s[14:15], s[12:13]
	s_mul_i32 s19, s15, 24
	s_mul_hi_u32 s20, s14, 24
	s_mul_i32 s21, s14, 24
	s_add_i32 s20, s20, s19
	s_waitcnt vmcnt(0)
	v_add_co_u32 v0, vcc_lo, v28, s21
	v_add_co_ci_u32_e64 v1, null, s20, v29, vcc_lo
	s_and_saveexec_b32 s19, s0
	s_cbranch_execz .LBB1_97
; %bb.96:                               ;   in Loop: Header=BB1_40 Depth=1
	v_mov_b32_e32 v12, s1
	global_store_dwordx4 v[0:1], v[12:15], off offset:8
.LBB1_97:                               ;   in Loop: Header=BB1_40 Depth=1
	s_or_b32 exec_lo, exec_lo, s19
	v_cmp_lt_u64_e64 vcc_lo, s[8:9], 57
	s_lshl_b64 s[14:15], s[14:15], 12
	v_and_b32_e32 v4, 0xffffff1f, v8
	s_lshl_b32 s1, s10, 2
	s_add_i32 s1, s1, 28
	v_cndmask_b32_e32 v3, 0, v35, vcc_lo
	v_add_co_u32 v30, vcc_lo, v30, s14
	v_add_co_ci_u32_e64 v31, null, s15, v31, vcc_lo
	v_or_b32_e32 v3, v4, v3
	v_readfirstlane_b32 s14, v30
	v_readfirstlane_b32 s15, v31
	v_and_or_b32 v8, 0x1e0, s1, v3
	global_store_dwordx4 v32, v[16:19], s[14:15] offset:16
	global_store_dwordx4 v32, v[8:11], s[14:15]
	global_store_dwordx4 v32, v[20:23], s[14:15] offset:32
	global_store_dwordx4 v32, v[24:27], s[14:15] offset:48
	s_and_saveexec_b32 s1, s0
	s_cbranch_execz .LBB1_105
; %bb.98:                               ;   in Loop: Header=BB1_40 Depth=1
	s_clause 0x1
	global_load_dwordx2 v[18:19], v13, s[2:3] offset:32 glc dlc
	global_load_dwordx2 v[3:4], v13, s[2:3] offset:40
	v_mov_b32_e32 v16, s12
	v_mov_b32_e32 v17, s13
	s_waitcnt vmcnt(0)
	v_readfirstlane_b32 s14, v3
	v_readfirstlane_b32 s15, v4
	s_and_b64 s[14:15], s[14:15], s[12:13]
	s_mul_i32 s15, s15, 24
	s_mul_hi_u32 s19, s14, 24
	s_mul_i32 s14, s14, 24
	s_add_i32 s19, s19, s15
	v_add_co_u32 v3, vcc_lo, v28, s14
	v_add_co_ci_u32_e64 v4, null, s19, v29, vcc_lo
	s_mov_b32 s14, exec_lo
	global_store_dwordx2 v[3:4], v[18:19], off
	s_waitcnt_vscnt null, 0x0
	global_atomic_cmpswap_x2 v[10:11], v13, v[16:19], s[2:3] offset:32 glc
	s_waitcnt vmcnt(0)
	v_cmpx_ne_u64_e64 v[10:11], v[18:19]
	s_cbranch_execz .LBB1_101
; %bb.99:                               ;   in Loop: Header=BB1_40 Depth=1
	s_mov_b32 s15, 0
.LBB1_100:                              ;   Parent Loop BB1_40 Depth=1
                                        ; =>  This Inner Loop Header: Depth=2
	v_mov_b32_e32 v8, s12
	v_mov_b32_e32 v9, s13
	s_sleep 1
	global_store_dwordx2 v[3:4], v[10:11], off
	s_waitcnt_vscnt null, 0x0
	global_atomic_cmpswap_x2 v[8:9], v13, v[8:11], s[2:3] offset:32 glc
	s_waitcnt vmcnt(0)
	v_cmp_eq_u64_e32 vcc_lo, v[8:9], v[10:11]
	v_mov_b32_e32 v11, v9
	v_mov_b32_e32 v10, v8
	s_or_b32 s15, vcc_lo, s15
	s_andn2_b32 exec_lo, exec_lo, s15
	s_cbranch_execnz .LBB1_100
.LBB1_101:                              ;   in Loop: Header=BB1_40 Depth=1
	s_or_b32 exec_lo, exec_lo, s14
	global_load_dwordx2 v[3:4], v13, s[2:3] offset:16
	s_mov_b32 s15, exec_lo
	s_mov_b32 s14, exec_lo
	v_mbcnt_lo_u32_b32 v8, s15, 0
	v_cmpx_eq_u32_e32 0, v8
	s_cbranch_execz .LBB1_103
; %bb.102:                              ;   in Loop: Header=BB1_40 Depth=1
	s_bcnt1_i32_b32 s15, s15
	v_mov_b32_e32 v12, s15
	s_waitcnt vmcnt(0)
	global_atomic_add_x2 v[3:4], v[12:13], off offset:8
.LBB1_103:                              ;   in Loop: Header=BB1_40 Depth=1
	s_or_b32 exec_lo, exec_lo, s14
	s_waitcnt vmcnt(0)
	global_load_dwordx2 v[8:9], v[3:4], off offset:16
	s_waitcnt vmcnt(0)
	v_cmp_eq_u64_e32 vcc_lo, 0, v[8:9]
	s_cbranch_vccnz .LBB1_105
; %bb.104:                              ;   in Loop: Header=BB1_40 Depth=1
	global_load_dword v12, v[3:4], off offset:24
	s_waitcnt vmcnt(0)
	v_readfirstlane_b32 s14, v12
	s_waitcnt_vscnt null, 0x0
	global_store_dwordx2 v[8:9], v[12:13], off
	s_and_b32 m0, s14, 0x7fffff
	s_sendmsg sendmsg(MSG_INTERRUPT)
.LBB1_105:                              ;   in Loop: Header=BB1_40 Depth=1
	s_or_b32 exec_lo, exec_lo, s1
	v_add_co_u32 v3, vcc_lo, v30, v32
	v_add_co_ci_u32_e64 v4, null, 0, v31, vcc_lo
	s_branch .LBB1_109
	.p2align	6
.LBB1_106:                              ;   in Loop: Header=BB1_109 Depth=2
	s_or_b32 exec_lo, exec_lo, s1
	v_readfirstlane_b32 s1, v8
	s_cmp_eq_u32 s1, 0
	s_cbranch_scc1 .LBB1_108
; %bb.107:                              ;   in Loop: Header=BB1_109 Depth=2
	s_sleep 1
	s_cbranch_execnz .LBB1_109
	s_branch .LBB1_111
	.p2align	6
.LBB1_108:                              ;   in Loop: Header=BB1_40 Depth=1
	s_branch .LBB1_111
.LBB1_109:                              ;   Parent Loop BB1_40 Depth=1
                                        ; =>  This Inner Loop Header: Depth=2
	v_mov_b32_e32 v8, 1
	s_and_saveexec_b32 s1, s0
	s_cbranch_execz .LBB1_106
; %bb.110:                              ;   in Loop: Header=BB1_109 Depth=2
	global_load_dword v8, v[0:1], off offset:20 glc dlc
	s_waitcnt vmcnt(0)
	buffer_gl1_inv
	buffer_gl0_inv
	v_and_b32_e32 v8, 1, v8
	s_branch .LBB1_106
.LBB1_111:                              ;   in Loop: Header=BB1_40 Depth=1
	global_load_dwordx2 v[8:9], v[3:4], off
	s_and_saveexec_b32 s14, s0
	s_cbranch_execz .LBB1_39
; %bb.112:                              ;   in Loop: Header=BB1_40 Depth=1
	s_clause 0x2
	global_load_dwordx2 v[0:1], v13, s[2:3] offset:40
	global_load_dwordx2 v[20:21], v13, s[2:3] offset:24 glc dlc
	global_load_dwordx2 v[3:4], v13, s[2:3]
	s_waitcnt vmcnt(2)
	v_readfirstlane_b32 s20, v0
	v_readfirstlane_b32 s21, v1
	s_add_u32 s15, s20, 1
	s_addc_u32 s19, s21, 0
	s_add_u32 s0, s15, s12
	s_addc_u32 s1, s19, s13
	s_cmp_eq_u64 s[0:1], 0
	s_cselect_b32 s1, s19, s1
	s_cselect_b32 s0, s15, s0
	v_mov_b32_e32 v19, s1
	s_and_b64 s[12:13], s[0:1], s[20:21]
	v_mov_b32_e32 v18, s0
	s_mul_i32 s13, s13, 24
	s_mul_hi_u32 s15, s12, 24
	s_mul_i32 s12, s12, 24
	s_add_i32 s15, s15, s13
	s_waitcnt vmcnt(0)
	v_add_co_u32 v0, vcc_lo, v3, s12
	v_add_co_ci_u32_e64 v1, null, s15, v4, vcc_lo
	global_store_dwordx2 v[0:1], v[20:21], off
	s_waitcnt_vscnt null, 0x0
	global_atomic_cmpswap_x2 v[18:19], v13, v[18:21], s[2:3] offset:24 glc
	s_waitcnt vmcnt(0)
	v_cmp_ne_u64_e32 vcc_lo, v[18:19], v[20:21]
	s_and_b32 exec_lo, exec_lo, vcc_lo
	s_cbranch_execz .LBB1_39
; %bb.113:                              ;   in Loop: Header=BB1_40 Depth=1
	s_mov_b32 s12, 0
.LBB1_114:                              ;   Parent Loop BB1_40 Depth=1
                                        ; =>  This Inner Loop Header: Depth=2
	v_mov_b32_e32 v16, s0
	v_mov_b32_e32 v17, s1
	s_sleep 1
	global_store_dwordx2 v[0:1], v[18:19], off
	s_waitcnt_vscnt null, 0x0
	global_atomic_cmpswap_x2 v[3:4], v13, v[16:19], s[2:3] offset:24 glc
	s_waitcnt vmcnt(0)
	v_cmp_eq_u64_e32 vcc_lo, v[3:4], v[18:19]
	v_mov_b32_e32 v19, v4
	v_mov_b32_e32 v18, v3
	s_or_b32 s12, vcc_lo, s12
	s_andn2_b32 exec_lo, exec_lo, s12
	s_cbranch_execnz .LBB1_114
	s_branch .LBB1_39
.LBB1_115:
	s_mov_b32 s0, 0
	s_branch .LBB1_117
.LBB1_116:
	s_mov_b32 s0, -1
                                        ; implicit-def: $vgpr8_vgpr9
.LBB1_117:
	s_and_b32 vcc_lo, exec_lo, s0
	s_cbranch_vccz .LBB1_145
; %bb.118:
	v_readfirstlane_b32 s0, v33
	v_mov_b32_e32 v0, 0
	v_mov_b32_e32 v1, 0
	v_cmp_eq_u32_e64 s0, s0, v33
	s_and_saveexec_b32 s1, s0
	s_cbranch_execz .LBB1_124
; %bb.119:
	v_mov_b32_e32 v3, 0
	s_mov_b32 s4, exec_lo
	global_load_dwordx2 v[10:11], v3, s[2:3] offset:24 glc dlc
	s_waitcnt vmcnt(0)
	buffer_gl1_inv
	buffer_gl0_inv
	s_clause 0x1
	global_load_dwordx2 v[0:1], v3, s[2:3] offset:40
	global_load_dwordx2 v[8:9], v3, s[2:3]
	s_waitcnt vmcnt(1)
	v_and_b32_e32 v1, v1, v11
	v_and_b32_e32 v0, v0, v10
	v_mul_lo_u32 v1, v1, 24
	v_mul_hi_u32 v4, v0, 24
	v_mul_lo_u32 v0, v0, 24
	v_add_nc_u32_e32 v1, v4, v1
	s_waitcnt vmcnt(0)
	v_add_co_u32 v0, vcc_lo, v8, v0
	v_add_co_ci_u32_e64 v1, null, v9, v1, vcc_lo
	global_load_dwordx2 v[8:9], v[0:1], off glc dlc
	s_waitcnt vmcnt(0)
	global_atomic_cmpswap_x2 v[0:1], v3, v[8:11], s[2:3] offset:24 glc
	s_waitcnt vmcnt(0)
	buffer_gl1_inv
	buffer_gl0_inv
	v_cmpx_ne_u64_e64 v[0:1], v[10:11]
	s_cbranch_execz .LBB1_123
; %bb.120:
	s_mov_b32 s5, 0
.LBB1_121:                              ; =>This Inner Loop Header: Depth=1
	s_sleep 1
	s_clause 0x1
	global_load_dwordx2 v[8:9], v3, s[2:3] offset:40
	global_load_dwordx2 v[12:13], v3, s[2:3]
	v_mov_b32_e32 v11, v1
	v_mov_b32_e32 v10, v0
	s_waitcnt vmcnt(1)
	v_and_b32_e32 v0, v8, v10
	v_and_b32_e32 v4, v9, v11
	s_waitcnt vmcnt(0)
	v_mad_u64_u32 v[0:1], null, v0, 24, v[12:13]
	v_mad_u64_u32 v[8:9], null, v4, 24, v[1:2]
	v_mov_b32_e32 v1, v8
	global_load_dwordx2 v[8:9], v[0:1], off glc dlc
	s_waitcnt vmcnt(0)
	global_atomic_cmpswap_x2 v[0:1], v3, v[8:11], s[2:3] offset:24 glc
	s_waitcnt vmcnt(0)
	buffer_gl1_inv
	buffer_gl0_inv
	v_cmp_eq_u64_e32 vcc_lo, v[0:1], v[10:11]
	s_or_b32 s5, vcc_lo, s5
	s_andn2_b32 exec_lo, exec_lo, s5
	s_cbranch_execnz .LBB1_121
; %bb.122:
	s_or_b32 exec_lo, exec_lo, s5
.LBB1_123:
	s_or_b32 exec_lo, exec_lo, s4
.LBB1_124:
	s_or_b32 exec_lo, exec_lo, s1
	s_waitcnt vmcnt(0)
	v_mov_b32_e32 v8, 0
	v_readfirstlane_b32 s5, v1
	v_readfirstlane_b32 s4, v0
	s_mov_b32 s1, exec_lo
	s_clause 0x1
	global_load_dwordx2 v[3:4], v8, s[2:3] offset:40
	global_load_dwordx4 v[10:13], v8, s[2:3]
	s_waitcnt vmcnt(1)
	v_readfirstlane_b32 s8, v3
	v_readfirstlane_b32 s9, v4
	s_and_b64 s[8:9], s[8:9], s[4:5]
	s_mul_i32 s10, s9, 24
	s_mul_hi_u32 s11, s8, 24
	s_mul_i32 s12, s8, 24
	s_add_i32 s11, s11, s10
	s_waitcnt vmcnt(0)
	v_add_co_u32 v0, vcc_lo, v10, s12
	v_add_co_ci_u32_e64 v1, null, s11, v11, vcc_lo
	s_and_saveexec_b32 s10, s0
	s_cbranch_execz .LBB1_126
; %bb.125:
	v_mov_b32_e32 v14, s1
	v_mov_b32_e32 v15, v8
	;; [unrolled: 1-line block ×4, first 2 shown]
	global_store_dwordx4 v[0:1], v[14:17], off offset:8
.LBB1_126:
	s_or_b32 exec_lo, exec_lo, s10
	s_lshl_b64 s[8:9], s[8:9], 12
	v_and_or_b32 v6, 0xffffff1f, v6, 32
	v_add_co_u32 v3, vcc_lo, v12, s8
	v_add_co_ci_u32_e64 v4, null, s9, v13, vcc_lo
	s_mov_b32 s8, 0
	v_readfirstlane_b32 s12, v3
	s_mov_b32 s11, s8
	v_add_co_u32 v3, vcc_lo, v3, v32
	s_mov_b32 s9, s8
	s_mov_b32 s10, s8
	v_mov_b32_e32 v9, v8
	v_readfirstlane_b32 s13, v4
	v_mov_b32_e32 v15, s11
	v_add_co_ci_u32_e64 v4, null, 0, v4, vcc_lo
	v_mov_b32_e32 v14, s10
	v_mov_b32_e32 v13, s9
	;; [unrolled: 1-line block ×3, first 2 shown]
	global_store_dwordx4 v32, v[6:9], s[12:13]
	global_store_dwordx4 v32, v[12:15], s[12:13] offset:16
	global_store_dwordx4 v32, v[12:15], s[12:13] offset:32
	;; [unrolled: 1-line block ×3, first 2 shown]
	s_and_saveexec_b32 s1, s0
	s_cbranch_execz .LBB1_134
; %bb.127:
	v_mov_b32_e32 v12, 0
	v_mov_b32_e32 v13, s4
	v_mov_b32_e32 v14, s5
	s_clause 0x1
	global_load_dwordx2 v[15:16], v12, s[2:3] offset:32 glc dlc
	global_load_dwordx2 v[6:7], v12, s[2:3] offset:40
	s_waitcnt vmcnt(0)
	v_readfirstlane_b32 s8, v6
	v_readfirstlane_b32 s9, v7
	s_and_b64 s[8:9], s[8:9], s[4:5]
	s_mul_i32 s9, s9, 24
	s_mul_hi_u32 s10, s8, 24
	s_mul_i32 s8, s8, 24
	s_add_i32 s10, s10, s9
	v_add_co_u32 v10, vcc_lo, v10, s8
	v_add_co_ci_u32_e64 v11, null, s10, v11, vcc_lo
	s_mov_b32 s8, exec_lo
	global_store_dwordx2 v[10:11], v[15:16], off
	s_waitcnt_vscnt null, 0x0
	global_atomic_cmpswap_x2 v[8:9], v12, v[13:16], s[2:3] offset:32 glc
	s_waitcnt vmcnt(0)
	v_cmpx_ne_u64_e64 v[8:9], v[15:16]
	s_cbranch_execz .LBB1_130
; %bb.128:
	s_mov_b32 s9, 0
.LBB1_129:                              ; =>This Inner Loop Header: Depth=1
	v_mov_b32_e32 v6, s4
	v_mov_b32_e32 v7, s5
	s_sleep 1
	global_store_dwordx2 v[10:11], v[8:9], off
	s_waitcnt_vscnt null, 0x0
	global_atomic_cmpswap_x2 v[6:7], v12, v[6:9], s[2:3] offset:32 glc
	s_waitcnt vmcnt(0)
	v_cmp_eq_u64_e32 vcc_lo, v[6:7], v[8:9]
	v_mov_b32_e32 v9, v7
	v_mov_b32_e32 v8, v6
	s_or_b32 s9, vcc_lo, s9
	s_andn2_b32 exec_lo, exec_lo, s9
	s_cbranch_execnz .LBB1_129
.LBB1_130:
	s_or_b32 exec_lo, exec_lo, s8
	v_mov_b32_e32 v9, 0
	s_mov_b32 s9, exec_lo
	s_mov_b32 s8, exec_lo
	v_mbcnt_lo_u32_b32 v8, s9, 0
	global_load_dwordx2 v[6:7], v9, s[2:3] offset:16
	v_cmpx_eq_u32_e32 0, v8
	s_cbranch_execz .LBB1_132
; %bb.131:
	s_bcnt1_i32_b32 s9, s9
	v_mov_b32_e32 v8, s9
	s_waitcnt vmcnt(0)
	global_atomic_add_x2 v[6:7], v[8:9], off offset:8
.LBB1_132:
	s_or_b32 exec_lo, exec_lo, s8
	s_waitcnt vmcnt(0)
	global_load_dwordx2 v[8:9], v[6:7], off offset:16
	s_waitcnt vmcnt(0)
	v_cmp_eq_u64_e32 vcc_lo, 0, v[8:9]
	s_cbranch_vccnz .LBB1_134
; %bb.133:
	global_load_dword v6, v[6:7], off offset:24
	v_mov_b32_e32 v7, 0
	s_waitcnt vmcnt(0)
	v_readfirstlane_b32 s8, v6
	s_waitcnt_vscnt null, 0x0
	global_store_dwordx2 v[8:9], v[6:7], off
	s_and_b32 m0, s8, 0x7fffff
	s_sendmsg sendmsg(MSG_INTERRUPT)
.LBB1_134:
	s_or_b32 exec_lo, exec_lo, s1
	s_branch .LBB1_138
	.p2align	6
.LBB1_135:                              ;   in Loop: Header=BB1_138 Depth=1
	s_or_b32 exec_lo, exec_lo, s1
	v_readfirstlane_b32 s1, v6
	s_cmp_eq_u32 s1, 0
	s_cbranch_scc1 .LBB1_137
; %bb.136:                              ;   in Loop: Header=BB1_138 Depth=1
	s_sleep 1
	s_cbranch_execnz .LBB1_138
	s_branch .LBB1_140
.LBB1_137:
	s_branch .LBB1_140
.LBB1_138:                              ; =>This Inner Loop Header: Depth=1
	v_mov_b32_e32 v6, 1
	s_and_saveexec_b32 s1, s0
	s_cbranch_execz .LBB1_135
; %bb.139:                              ;   in Loop: Header=BB1_138 Depth=1
	global_load_dword v6, v[0:1], off offset:20 glc dlc
	s_waitcnt vmcnt(0)
	buffer_gl1_inv
	buffer_gl0_inv
	v_and_b32_e32 v6, 1, v6
	s_branch .LBB1_135
.LBB1_140:
	global_load_dwordx2 v[8:9], v[3:4], off
	s_and_saveexec_b32 s8, s0
	s_cbranch_execz .LBB1_144
; %bb.141:
	v_mov_b32_e32 v3, 0
	s_clause 0x2
	global_load_dwordx2 v[0:1], v3, s[2:3] offset:40
	global_load_dwordx2 v[14:15], v3, s[2:3] offset:24 glc dlc
	global_load_dwordx2 v[6:7], v3, s[2:3]
	s_waitcnt vmcnt(2)
	v_readfirstlane_b32 s10, v0
	v_readfirstlane_b32 s11, v1
	s_add_u32 s9, s10, 1
	s_addc_u32 s12, s11, 0
	s_add_u32 s0, s9, s4
	s_addc_u32 s1, s12, s5
	s_cmp_eq_u64 s[0:1], 0
	s_cselect_b32 s1, s12, s1
	s_cselect_b32 s0, s9, s0
	v_mov_b32_e32 v13, s1
	s_and_b64 s[4:5], s[0:1], s[10:11]
	v_mov_b32_e32 v12, s0
	s_mul_i32 s5, s5, 24
	s_mul_hi_u32 s9, s4, 24
	s_mul_i32 s4, s4, 24
	s_add_i32 s9, s9, s5
	s_waitcnt vmcnt(0)
	v_add_co_u32 v0, vcc_lo, v6, s4
	v_add_co_ci_u32_e64 v1, null, s9, v7, vcc_lo
	global_store_dwordx2 v[0:1], v[14:15], off
	s_waitcnt_vscnt null, 0x0
	global_atomic_cmpswap_x2 v[12:13], v3, v[12:15], s[2:3] offset:24 glc
	s_waitcnt vmcnt(0)
	v_cmp_ne_u64_e32 vcc_lo, v[12:13], v[14:15]
	s_and_b32 exec_lo, exec_lo, vcc_lo
	s_cbranch_execz .LBB1_144
; %bb.142:
	s_mov_b32 s4, 0
.LBB1_143:                              ; =>This Inner Loop Header: Depth=1
	v_mov_b32_e32 v10, s0
	v_mov_b32_e32 v11, s1
	s_sleep 1
	global_store_dwordx2 v[0:1], v[12:13], off
	s_waitcnt_vscnt null, 0x0
	global_atomic_cmpswap_x2 v[6:7], v3, v[10:13], s[2:3] offset:24 glc
	s_waitcnt vmcnt(0)
	v_cmp_eq_u64_e32 vcc_lo, v[6:7], v[12:13]
	v_mov_b32_e32 v13, v7
	v_mov_b32_e32 v12, v6
	s_or_b32 s4, vcc_lo, s4
	s_andn2_b32 exec_lo, exec_lo, s4
	s_cbranch_execnz .LBB1_143
.LBB1_144:
	s_or_b32 exec_lo, exec_lo, s8
.LBB1_145:
	v_readfirstlane_b32 s0, v33
	v_mov_b32_e32 v0, 0
	v_mov_b32_e32 v1, 0
	v_cmp_eq_u32_e64 s0, s0, v33
	s_and_saveexec_b32 s1, s0
	s_cbranch_execz .LBB1_151
; %bb.146:
	v_mov_b32_e32 v3, 0
	s_mov_b32 s4, exec_lo
	global_load_dwordx2 v[12:13], v3, s[2:3] offset:24 glc dlc
	s_waitcnt vmcnt(0)
	buffer_gl1_inv
	buffer_gl0_inv
	s_clause 0x1
	global_load_dwordx2 v[0:1], v3, s[2:3] offset:40
	global_load_dwordx2 v[6:7], v3, s[2:3]
	s_waitcnt vmcnt(1)
	v_and_b32_e32 v1, v1, v13
	v_and_b32_e32 v0, v0, v12
	v_mul_lo_u32 v1, v1, 24
	v_mul_hi_u32 v4, v0, 24
	v_mul_lo_u32 v0, v0, 24
	v_add_nc_u32_e32 v1, v4, v1
	s_waitcnt vmcnt(0)
	v_add_co_u32 v0, vcc_lo, v6, v0
	v_add_co_ci_u32_e64 v1, null, v7, v1, vcc_lo
	global_load_dwordx2 v[10:11], v[0:1], off glc dlc
	s_waitcnt vmcnt(0)
	global_atomic_cmpswap_x2 v[0:1], v3, v[10:13], s[2:3] offset:24 glc
	s_waitcnt vmcnt(0)
	buffer_gl1_inv
	buffer_gl0_inv
	v_cmpx_ne_u64_e64 v[0:1], v[12:13]
	s_cbranch_execz .LBB1_150
; %bb.147:
	s_mov_b32 s5, 0
	.p2align	6
.LBB1_148:                              ; =>This Inner Loop Header: Depth=1
	s_sleep 1
	s_clause 0x1
	global_load_dwordx2 v[6:7], v3, s[2:3] offset:40
	global_load_dwordx2 v[10:11], v3, s[2:3]
	v_mov_b32_e32 v13, v1
	v_mov_b32_e32 v12, v0
	s_waitcnt vmcnt(1)
	v_and_b32_e32 v0, v6, v12
	v_and_b32_e32 v4, v7, v13
	s_waitcnt vmcnt(0)
	v_mad_u64_u32 v[0:1], null, v0, 24, v[10:11]
	v_mad_u64_u32 v[6:7], null, v4, 24, v[1:2]
	v_mov_b32_e32 v1, v6
	global_load_dwordx2 v[10:11], v[0:1], off glc dlc
	s_waitcnt vmcnt(0)
	global_atomic_cmpswap_x2 v[0:1], v3, v[10:13], s[2:3] offset:24 glc
	s_waitcnt vmcnt(0)
	buffer_gl1_inv
	buffer_gl0_inv
	v_cmp_eq_u64_e32 vcc_lo, v[0:1], v[12:13]
	s_or_b32 s5, vcc_lo, s5
	s_andn2_b32 exec_lo, exec_lo, s5
	s_cbranch_execnz .LBB1_148
; %bb.149:
	s_or_b32 exec_lo, exec_lo, s5
.LBB1_150:
	s_or_b32 exec_lo, exec_lo, s4
.LBB1_151:
	s_or_b32 exec_lo, exec_lo, s1
	v_mov_b32_e32 v11, 0
	v_readfirstlane_b32 s5, v1
	v_readfirstlane_b32 s4, v0
	s_mov_b32 s1, exec_lo
	s_clause 0x1
	global_load_dwordx2 v[3:4], v11, s[2:3] offset:40
	global_load_dwordx4 v[12:15], v11, s[2:3]
	s_waitcnt vmcnt(1)
	v_readfirstlane_b32 s8, v3
	v_readfirstlane_b32 s9, v4
	s_and_b64 s[8:9], s[8:9], s[4:5]
	s_mul_i32 s10, s9, 24
	s_mul_hi_u32 s11, s8, 24
	s_mul_i32 s12, s8, 24
	s_add_i32 s11, s11, s10
	s_waitcnt vmcnt(0)
	v_add_co_u32 v0, vcc_lo, v12, s12
	v_add_co_ci_u32_e64 v1, null, s11, v13, vcc_lo
	s_and_saveexec_b32 s10, s0
	s_cbranch_execz .LBB1_153
; %bb.152:
	v_mov_b32_e32 v10, s1
	v_mov_b32_e32 v17, v11
	;; [unrolled: 1-line block ×5, first 2 shown]
	global_store_dwordx4 v[0:1], v[16:19], off offset:8
.LBB1_153:
	s_or_b32 exec_lo, exec_lo, s10
	s_lshl_b64 s[8:9], s[8:9], 12
	v_and_or_b32 v8, 0xffffff1f, v8, 32
	v_add_co_u32 v3, vcc_lo, v14, s8
	v_add_co_ci_u32_e64 v4, null, s9, v15, vcc_lo
	s_mov_b32 s8, 0
	v_readfirstlane_b32 s12, v3
	s_mov_b32 s11, s8
	v_add_co_u32 v3, vcc_lo, v3, v32
	s_mov_b32 s9, s8
	s_mov_b32 s10, s8
	v_mov_b32_e32 v10, v34
	v_readfirstlane_b32 s13, v4
	v_mov_b32_e32 v17, s11
	v_add_co_ci_u32_e64 v4, null, 0, v4, vcc_lo
	v_mov_b32_e32 v16, s10
	v_mov_b32_e32 v15, s9
	;; [unrolled: 1-line block ×3, first 2 shown]
	global_store_dwordx4 v32, v[8:11], s[12:13]
	global_store_dwordx4 v32, v[14:17], s[12:13] offset:16
	global_store_dwordx4 v32, v[14:17], s[12:13] offset:32
	global_store_dwordx4 v32, v[14:17], s[12:13] offset:48
	s_and_saveexec_b32 s1, s0
	s_cbranch_execz .LBB1_161
; %bb.154:
	v_mov_b32_e32 v14, 0
	v_mov_b32_e32 v15, s4
	;; [unrolled: 1-line block ×3, first 2 shown]
	s_clause 0x1
	global_load_dwordx2 v[17:18], v14, s[2:3] offset:32 glc dlc
	global_load_dwordx2 v[6:7], v14, s[2:3] offset:40
	s_waitcnt vmcnt(0)
	v_readfirstlane_b32 s8, v6
	v_readfirstlane_b32 s9, v7
	s_and_b64 s[8:9], s[8:9], s[4:5]
	s_mul_i32 s9, s9, 24
	s_mul_hi_u32 s10, s8, 24
	s_mul_i32 s8, s8, 24
	s_add_i32 s10, s10, s9
	v_add_co_u32 v10, vcc_lo, v12, s8
	v_add_co_ci_u32_e64 v11, null, s10, v13, vcc_lo
	s_mov_b32 s8, exec_lo
	global_store_dwordx2 v[10:11], v[17:18], off
	s_waitcnt_vscnt null, 0x0
	global_atomic_cmpswap_x2 v[8:9], v14, v[15:18], s[2:3] offset:32 glc
	s_waitcnt vmcnt(0)
	v_cmpx_ne_u64_e64 v[8:9], v[17:18]
	s_cbranch_execz .LBB1_157
; %bb.155:
	s_mov_b32 s9, 0
.LBB1_156:                              ; =>This Inner Loop Header: Depth=1
	v_mov_b32_e32 v6, s4
	v_mov_b32_e32 v7, s5
	s_sleep 1
	global_store_dwordx2 v[10:11], v[8:9], off
	s_waitcnt_vscnt null, 0x0
	global_atomic_cmpswap_x2 v[6:7], v14, v[6:9], s[2:3] offset:32 glc
	s_waitcnt vmcnt(0)
	v_cmp_eq_u64_e32 vcc_lo, v[6:7], v[8:9]
	v_mov_b32_e32 v9, v7
	v_mov_b32_e32 v8, v6
	s_or_b32 s9, vcc_lo, s9
	s_andn2_b32 exec_lo, exec_lo, s9
	s_cbranch_execnz .LBB1_156
.LBB1_157:
	s_or_b32 exec_lo, exec_lo, s8
	v_mov_b32_e32 v9, 0
	s_mov_b32 s9, exec_lo
	s_mov_b32 s8, exec_lo
	v_mbcnt_lo_u32_b32 v8, s9, 0
	global_load_dwordx2 v[6:7], v9, s[2:3] offset:16
	v_cmpx_eq_u32_e32 0, v8
	s_cbranch_execz .LBB1_159
; %bb.158:
	s_bcnt1_i32_b32 s9, s9
	v_mov_b32_e32 v8, s9
	s_waitcnt vmcnt(0)
	global_atomic_add_x2 v[6:7], v[8:9], off offset:8
.LBB1_159:
	s_or_b32 exec_lo, exec_lo, s8
	s_waitcnt vmcnt(0)
	global_load_dwordx2 v[8:9], v[6:7], off offset:16
	s_waitcnt vmcnt(0)
	v_cmp_eq_u64_e32 vcc_lo, 0, v[8:9]
	s_cbranch_vccnz .LBB1_161
; %bb.160:
	global_load_dword v6, v[6:7], off offset:24
	v_mov_b32_e32 v7, 0
	s_waitcnt vmcnt(0)
	v_readfirstlane_b32 s8, v6
	s_waitcnt_vscnt null, 0x0
	global_store_dwordx2 v[8:9], v[6:7], off
	s_and_b32 m0, s8, 0x7fffff
	s_sendmsg sendmsg(MSG_INTERRUPT)
.LBB1_161:
	s_or_b32 exec_lo, exec_lo, s1
	s_branch .LBB1_165
	.p2align	6
.LBB1_162:                              ;   in Loop: Header=BB1_165 Depth=1
	s_or_b32 exec_lo, exec_lo, s1
	v_readfirstlane_b32 s1, v6
	s_cmp_eq_u32 s1, 0
	s_cbranch_scc1 .LBB1_164
; %bb.163:                              ;   in Loop: Header=BB1_165 Depth=1
	s_sleep 1
	s_cbranch_execnz .LBB1_165
	s_branch .LBB1_167
	.p2align	6
.LBB1_164:
	s_branch .LBB1_167
.LBB1_165:                              ; =>This Inner Loop Header: Depth=1
	v_mov_b32_e32 v6, 1
	s_and_saveexec_b32 s1, s0
	s_cbranch_execz .LBB1_162
; %bb.166:                              ;   in Loop: Header=BB1_165 Depth=1
	global_load_dword v6, v[0:1], off offset:20 glc dlc
	s_waitcnt vmcnt(0)
	buffer_gl1_inv
	buffer_gl0_inv
	v_and_b32_e32 v6, 1, v6
	s_branch .LBB1_162
.LBB1_167:
	global_load_dwordx2 v[6:7], v[3:4], off
	s_and_saveexec_b32 s8, s0
	s_cbranch_execz .LBB1_171
; %bb.168:
	v_mov_b32_e32 v3, 0
	s_clause 0x2
	global_load_dwordx2 v[0:1], v3, s[2:3] offset:40
	global_load_dwordx2 v[12:13], v3, s[2:3] offset:24 glc dlc
	global_load_dwordx2 v[8:9], v3, s[2:3]
	s_waitcnt vmcnt(2)
	v_readfirstlane_b32 s10, v0
	v_readfirstlane_b32 s11, v1
	s_add_u32 s9, s10, 1
	s_addc_u32 s12, s11, 0
	s_add_u32 s0, s9, s4
	s_addc_u32 s1, s12, s5
	s_cmp_eq_u64 s[0:1], 0
	s_cselect_b32 s1, s12, s1
	s_cselect_b32 s0, s9, s0
	v_mov_b32_e32 v11, s1
	s_and_b64 s[4:5], s[0:1], s[10:11]
	v_mov_b32_e32 v10, s0
	s_mul_i32 s5, s5, 24
	s_mul_hi_u32 s9, s4, 24
	s_mul_i32 s4, s4, 24
	s_add_i32 s9, s9, s5
	s_waitcnt vmcnt(0)
	v_add_co_u32 v0, vcc_lo, v8, s4
	v_add_co_ci_u32_e64 v1, null, s9, v9, vcc_lo
	global_store_dwordx2 v[0:1], v[12:13], off
	s_waitcnt_vscnt null, 0x0
	global_atomic_cmpswap_x2 v[10:11], v3, v[10:13], s[2:3] offset:24 glc
	s_waitcnt vmcnt(0)
	v_cmp_ne_u64_e32 vcc_lo, v[10:11], v[12:13]
	s_and_b32 exec_lo, exec_lo, vcc_lo
	s_cbranch_execz .LBB1_171
; %bb.169:
	s_mov_b32 s4, 0
.LBB1_170:                              ; =>This Inner Loop Header: Depth=1
	v_mov_b32_e32 v8, s0
	v_mov_b32_e32 v9, s1
	s_sleep 1
	global_store_dwordx2 v[0:1], v[10:11], off
	s_waitcnt_vscnt null, 0x0
	global_atomic_cmpswap_x2 v[8:9], v3, v[8:11], s[2:3] offset:24 glc
	s_waitcnt vmcnt(0)
	v_cmp_eq_u64_e32 vcc_lo, v[8:9], v[10:11]
	v_mov_b32_e32 v11, v9
	v_mov_b32_e32 v10, v8
	s_or_b32 s4, vcc_lo, s4
	s_andn2_b32 exec_lo, exec_lo, s4
	s_cbranch_execnz .LBB1_170
.LBB1_171:
	s_or_b32 exec_lo, exec_lo, s8
	v_readfirstlane_b32 s0, v33
	v_mov_b32_e32 v0, 0
	v_mov_b32_e32 v1, 0
	v_cmp_eq_u32_e64 s0, s0, v33
	s_and_saveexec_b32 s1, s0
	s_cbranch_execz .LBB1_177
; %bb.172:
	v_mov_b32_e32 v3, 0
	s_mov_b32 s4, exec_lo
	global_load_dwordx2 v[10:11], v3, s[2:3] offset:24 glc dlc
	s_waitcnt vmcnt(0)
	buffer_gl1_inv
	buffer_gl0_inv
	s_clause 0x1
	global_load_dwordx2 v[0:1], v3, s[2:3] offset:40
	global_load_dwordx2 v[8:9], v3, s[2:3]
	s_waitcnt vmcnt(1)
	v_and_b32_e32 v1, v1, v11
	v_and_b32_e32 v0, v0, v10
	v_mul_lo_u32 v1, v1, 24
	v_mul_hi_u32 v4, v0, 24
	v_mul_lo_u32 v0, v0, 24
	v_add_nc_u32_e32 v1, v4, v1
	s_waitcnt vmcnt(0)
	v_add_co_u32 v0, vcc_lo, v8, v0
	v_add_co_ci_u32_e64 v1, null, v9, v1, vcc_lo
	global_load_dwordx2 v[8:9], v[0:1], off glc dlc
	s_waitcnt vmcnt(0)
	global_atomic_cmpswap_x2 v[0:1], v3, v[8:11], s[2:3] offset:24 glc
	s_waitcnt vmcnt(0)
	buffer_gl1_inv
	buffer_gl0_inv
	v_cmpx_ne_u64_e64 v[0:1], v[10:11]
	s_cbranch_execz .LBB1_176
; %bb.173:
	s_mov_b32 s5, 0
	.p2align	6
.LBB1_174:                              ; =>This Inner Loop Header: Depth=1
	s_sleep 1
	s_clause 0x1
	global_load_dwordx2 v[8:9], v3, s[2:3] offset:40
	global_load_dwordx2 v[12:13], v3, s[2:3]
	v_mov_b32_e32 v11, v1
	v_mov_b32_e32 v10, v0
	s_waitcnt vmcnt(1)
	v_and_b32_e32 v0, v8, v10
	v_and_b32_e32 v4, v9, v11
	s_waitcnt vmcnt(0)
	v_mad_u64_u32 v[0:1], null, v0, 24, v[12:13]
	v_mad_u64_u32 v[8:9], null, v4, 24, v[1:2]
	v_mov_b32_e32 v1, v8
	global_load_dwordx2 v[8:9], v[0:1], off glc dlc
	s_waitcnt vmcnt(0)
	global_atomic_cmpswap_x2 v[0:1], v3, v[8:11], s[2:3] offset:24 glc
	s_waitcnt vmcnt(0)
	buffer_gl1_inv
	buffer_gl0_inv
	v_cmp_eq_u64_e32 vcc_lo, v[0:1], v[10:11]
	s_or_b32 s5, vcc_lo, s5
	s_andn2_b32 exec_lo, exec_lo, s5
	s_cbranch_execnz .LBB1_174
; %bb.175:
	s_or_b32 exec_lo, exec_lo, s5
.LBB1_176:
	s_or_b32 exec_lo, exec_lo, s4
.LBB1_177:
	s_or_b32 exec_lo, exec_lo, s1
	v_mov_b32_e32 v9, 0
	v_readfirstlane_b32 s5, v1
	v_readfirstlane_b32 s4, v0
	s_mov_b32 s1, exec_lo
	s_clause 0x1
	global_load_dwordx2 v[3:4], v9, s[2:3] offset:40
	global_load_dwordx4 v[10:13], v9, s[2:3]
	s_waitcnt vmcnt(1)
	v_readfirstlane_b32 s8, v3
	v_readfirstlane_b32 s9, v4
	s_and_b64 s[8:9], s[8:9], s[4:5]
	s_mul_i32 s10, s9, 24
	s_mul_hi_u32 s11, s8, 24
	s_mul_i32 s12, s8, 24
	s_add_i32 s11, s11, s10
	s_waitcnt vmcnt(0)
	v_add_co_u32 v0, vcc_lo, v10, s12
	v_add_co_ci_u32_e64 v1, null, s11, v11, vcc_lo
	s_and_saveexec_b32 s10, s0
	s_cbranch_execz .LBB1_179
; %bb.178:
	v_mov_b32_e32 v8, s1
	v_mov_b32_e32 v15, v9
	;; [unrolled: 1-line block ×5, first 2 shown]
	global_store_dwordx4 v[0:1], v[14:17], off offset:8
.LBB1_179:
	s_or_b32 exec_lo, exec_lo, s10
	s_lshl_b64 s[8:9], s[8:9], 12
	v_and_or_b32 v6, 0xffffff1f, v6, 32
	v_add_co_u32 v3, vcc_lo, v12, s8
	v_add_co_ci_u32_e64 v4, null, s9, v13, vcc_lo
	s_mov_b32 s8, 0
	v_readfirstlane_b32 s12, v3
	s_mov_b32 s11, s8
	v_add_co_u32 v3, vcc_lo, v3, v32
	s_mov_b32 s9, s8
	s_mov_b32 s10, s8
	v_mov_b32_e32 v8, s6
	v_readfirstlane_b32 s13, v4
	v_mov_b32_e32 v15, s11
	v_add_co_ci_u32_e64 v4, null, 0, v4, vcc_lo
	v_mov_b32_e32 v14, s10
	v_mov_b32_e32 v13, s9
	;; [unrolled: 1-line block ×3, first 2 shown]
	global_store_dwordx4 v32, v[6:9], s[12:13]
	global_store_dwordx4 v32, v[12:15], s[12:13] offset:16
	global_store_dwordx4 v32, v[12:15], s[12:13] offset:32
	;; [unrolled: 1-line block ×3, first 2 shown]
	s_and_saveexec_b32 s1, s0
	s_cbranch_execz .LBB1_187
; %bb.180:
	v_mov_b32_e32 v12, 0
	v_mov_b32_e32 v13, s4
	;; [unrolled: 1-line block ×3, first 2 shown]
	s_clause 0x1
	global_load_dwordx2 v[15:16], v12, s[2:3] offset:32 glc dlc
	global_load_dwordx2 v[6:7], v12, s[2:3] offset:40
	s_waitcnt vmcnt(0)
	v_readfirstlane_b32 s8, v6
	v_readfirstlane_b32 s9, v7
	s_and_b64 s[8:9], s[8:9], s[4:5]
	s_mul_i32 s6, s9, 24
	s_mul_hi_u32 s9, s8, 24
	s_mul_i32 s8, s8, 24
	s_add_i32 s9, s9, s6
	v_add_co_u32 v10, vcc_lo, v10, s8
	v_add_co_ci_u32_e64 v11, null, s9, v11, vcc_lo
	s_mov_b32 s6, exec_lo
	global_store_dwordx2 v[10:11], v[15:16], off
	s_waitcnt_vscnt null, 0x0
	global_atomic_cmpswap_x2 v[8:9], v12, v[13:16], s[2:3] offset:32 glc
	s_waitcnt vmcnt(0)
	v_cmpx_ne_u64_e64 v[8:9], v[15:16]
	s_cbranch_execz .LBB1_183
; %bb.181:
	s_mov_b32 s8, 0
.LBB1_182:                              ; =>This Inner Loop Header: Depth=1
	v_mov_b32_e32 v6, s4
	v_mov_b32_e32 v7, s5
	s_sleep 1
	global_store_dwordx2 v[10:11], v[8:9], off
	s_waitcnt_vscnt null, 0x0
	global_atomic_cmpswap_x2 v[6:7], v12, v[6:9], s[2:3] offset:32 glc
	s_waitcnt vmcnt(0)
	v_cmp_eq_u64_e32 vcc_lo, v[6:7], v[8:9]
	v_mov_b32_e32 v9, v7
	v_mov_b32_e32 v8, v6
	s_or_b32 s8, vcc_lo, s8
	s_andn2_b32 exec_lo, exec_lo, s8
	s_cbranch_execnz .LBB1_182
.LBB1_183:
	s_or_b32 exec_lo, exec_lo, s6
	v_mov_b32_e32 v9, 0
	s_mov_b32 s8, exec_lo
	s_mov_b32 s6, exec_lo
	v_mbcnt_lo_u32_b32 v8, s8, 0
	global_load_dwordx2 v[6:7], v9, s[2:3] offset:16
	v_cmpx_eq_u32_e32 0, v8
	s_cbranch_execz .LBB1_185
; %bb.184:
	s_bcnt1_i32_b32 s8, s8
	v_mov_b32_e32 v8, s8
	s_waitcnt vmcnt(0)
	global_atomic_add_x2 v[6:7], v[8:9], off offset:8
.LBB1_185:
	s_or_b32 exec_lo, exec_lo, s6
	s_waitcnt vmcnt(0)
	global_load_dwordx2 v[8:9], v[6:7], off offset:16
	s_waitcnt vmcnt(0)
	v_cmp_eq_u64_e32 vcc_lo, 0, v[8:9]
	s_cbranch_vccnz .LBB1_187
; %bb.186:
	global_load_dword v6, v[6:7], off offset:24
	v_mov_b32_e32 v7, 0
	s_waitcnt vmcnt(0)
	v_readfirstlane_b32 s6, v6
	s_waitcnt_vscnt null, 0x0
	global_store_dwordx2 v[8:9], v[6:7], off
	s_and_b32 m0, s6, 0x7fffff
	s_sendmsg sendmsg(MSG_INTERRUPT)
.LBB1_187:
	s_or_b32 exec_lo, exec_lo, s1
	s_branch .LBB1_191
	.p2align	6
.LBB1_188:                              ;   in Loop: Header=BB1_191 Depth=1
	s_or_b32 exec_lo, exec_lo, s1
	v_readfirstlane_b32 s1, v6
	s_cmp_eq_u32 s1, 0
	s_cbranch_scc1 .LBB1_190
; %bb.189:                              ;   in Loop: Header=BB1_191 Depth=1
	s_sleep 1
	s_cbranch_execnz .LBB1_191
	s_branch .LBB1_193
	.p2align	6
.LBB1_190:
	s_branch .LBB1_193
.LBB1_191:                              ; =>This Inner Loop Header: Depth=1
	v_mov_b32_e32 v6, 1
	s_and_saveexec_b32 s1, s0
	s_cbranch_execz .LBB1_188
; %bb.192:                              ;   in Loop: Header=BB1_191 Depth=1
	global_load_dword v6, v[0:1], off offset:20 glc dlc
	s_waitcnt vmcnt(0)
	buffer_gl1_inv
	buffer_gl0_inv
	v_and_b32_e32 v6, 1, v6
	s_branch .LBB1_188
.LBB1_193:
	global_load_dwordx2 v[3:4], v[3:4], off
	s_and_saveexec_b32 s6, s0
	s_cbranch_execz .LBB1_197
; %bb.194:
	v_mov_b32_e32 v10, 0
	s_clause 0x2
	global_load_dwordx2 v[0:1], v10, s[2:3] offset:40
	global_load_dwordx2 v[13:14], v10, s[2:3] offset:24 glc dlc
	global_load_dwordx2 v[6:7], v10, s[2:3]
	s_waitcnt vmcnt(2)
	v_readfirstlane_b32 s8, v0
	v_readfirstlane_b32 s9, v1
	s_add_u32 s10, s8, 1
	s_addc_u32 s11, s9, 0
	s_add_u32 s0, s10, s4
	s_addc_u32 s1, s11, s5
	s_cmp_eq_u64 s[0:1], 0
	s_cselect_b32 s1, s11, s1
	s_cselect_b32 s0, s10, s0
	v_mov_b32_e32 v12, s1
	s_and_b64 s[4:5], s[0:1], s[8:9]
	v_mov_b32_e32 v11, s0
	s_mul_i32 s5, s5, 24
	s_mul_hi_u32 s8, s4, 24
	s_mul_i32 s4, s4, 24
	s_add_i32 s8, s8, s5
	s_waitcnt vmcnt(0)
	v_add_co_u32 v0, vcc_lo, v6, s4
	v_add_co_ci_u32_e64 v1, null, s8, v7, vcc_lo
	global_store_dwordx2 v[0:1], v[13:14], off
	s_waitcnt_vscnt null, 0x0
	global_atomic_cmpswap_x2 v[8:9], v10, v[11:14], s[2:3] offset:24 glc
	s_waitcnt vmcnt(0)
	v_cmp_ne_u64_e32 vcc_lo, v[8:9], v[13:14]
	s_and_b32 exec_lo, exec_lo, vcc_lo
	s_cbranch_execz .LBB1_197
; %bb.195:
	s_mov_b32 s4, 0
.LBB1_196:                              ; =>This Inner Loop Header: Depth=1
	v_mov_b32_e32 v6, s0
	v_mov_b32_e32 v7, s1
	s_sleep 1
	global_store_dwordx2 v[0:1], v[8:9], off
	s_waitcnt_vscnt null, 0x0
	global_atomic_cmpswap_x2 v[6:7], v10, v[6:9], s[2:3] offset:24 glc
	s_waitcnt vmcnt(0)
	v_cmp_eq_u64_e32 vcc_lo, v[6:7], v[8:9]
	v_mov_b32_e32 v9, v7
	v_mov_b32_e32 v8, v6
	s_or_b32 s4, vcc_lo, s4
	s_andn2_b32 exec_lo, exec_lo, s4
	s_cbranch_execnz .LBB1_196
.LBB1_197:
	s_or_b32 exec_lo, exec_lo, s6
	v_readfirstlane_b32 s0, v33
	v_mov_b32_e32 v0, 0
	v_mov_b32_e32 v1, 0
	v_cmp_eq_u32_e64 s0, s0, v33
	s_and_saveexec_b32 s1, s0
	s_cbranch_execz .LBB1_203
; %bb.198:
	v_mov_b32_e32 v6, 0
	s_mov_b32 s4, exec_lo
	global_load_dwordx2 v[9:10], v6, s[2:3] offset:24 glc dlc
	s_waitcnt vmcnt(0)
	buffer_gl1_inv
	buffer_gl0_inv
	s_clause 0x1
	global_load_dwordx2 v[0:1], v6, s[2:3] offset:40
	global_load_dwordx2 v[7:8], v6, s[2:3]
	s_waitcnt vmcnt(1)
	v_and_b32_e32 v1, v1, v10
	v_and_b32_e32 v0, v0, v9
	v_mul_lo_u32 v1, v1, 24
	v_mul_hi_u32 v11, v0, 24
	v_mul_lo_u32 v0, v0, 24
	v_add_nc_u32_e32 v1, v11, v1
	s_waitcnt vmcnt(0)
	v_add_co_u32 v0, vcc_lo, v7, v0
	v_add_co_ci_u32_e64 v1, null, v8, v1, vcc_lo
	global_load_dwordx2 v[7:8], v[0:1], off glc dlc
	s_waitcnt vmcnt(0)
	global_atomic_cmpswap_x2 v[0:1], v6, v[7:10], s[2:3] offset:24 glc
	s_waitcnt vmcnt(0)
	buffer_gl1_inv
	buffer_gl0_inv
	v_cmpx_ne_u64_e64 v[0:1], v[9:10]
	s_cbranch_execz .LBB1_202
; %bb.199:
	s_mov_b32 s5, 0
	.p2align	6
.LBB1_200:                              ; =>This Inner Loop Header: Depth=1
	s_sleep 1
	s_clause 0x1
	global_load_dwordx2 v[7:8], v6, s[2:3] offset:40
	global_load_dwordx2 v[11:12], v6, s[2:3]
	v_mov_b32_e32 v10, v1
	v_mov_b32_e32 v9, v0
	s_waitcnt vmcnt(1)
	v_and_b32_e32 v0, v7, v9
	v_and_b32_e32 v7, v8, v10
	s_waitcnt vmcnt(0)
	v_mad_u64_u32 v[0:1], null, v0, 24, v[11:12]
	v_mad_u64_u32 v[7:8], null, v7, 24, v[1:2]
	v_mov_b32_e32 v1, v7
	global_load_dwordx2 v[7:8], v[0:1], off glc dlc
	s_waitcnt vmcnt(0)
	global_atomic_cmpswap_x2 v[0:1], v6, v[7:10], s[2:3] offset:24 glc
	s_waitcnt vmcnt(0)
	buffer_gl1_inv
	buffer_gl0_inv
	v_cmp_eq_u64_e32 vcc_lo, v[0:1], v[9:10]
	s_or_b32 s5, vcc_lo, s5
	s_andn2_b32 exec_lo, exec_lo, s5
	s_cbranch_execnz .LBB1_200
; %bb.201:
	s_or_b32 exec_lo, exec_lo, s5
.LBB1_202:
	s_or_b32 exec_lo, exec_lo, s4
.LBB1_203:
	s_or_b32 exec_lo, exec_lo, s1
	v_mov_b32_e32 v6, 0
	v_readfirstlane_b32 s5, v1
	v_readfirstlane_b32 s4, v0
	s_mov_b32 s1, exec_lo
	s_clause 0x1
	global_load_dwordx2 v[11:12], v6, s[2:3] offset:40
	global_load_dwordx4 v[7:10], v6, s[2:3]
	s_waitcnt vmcnt(1)
	v_readfirstlane_b32 s8, v11
	v_readfirstlane_b32 s9, v12
	s_and_b64 s[8:9], s[8:9], s[4:5]
	s_mul_i32 s6, s9, 24
	s_mul_hi_u32 s10, s8, 24
	s_mul_i32 s11, s8, 24
	s_add_i32 s10, s10, s6
	s_waitcnt vmcnt(0)
	v_add_co_u32 v0, vcc_lo, v7, s11
	v_add_co_ci_u32_e64 v1, null, s10, v8, vcc_lo
	s_and_saveexec_b32 s6, s0
	s_cbranch_execz .LBB1_205
; %bb.204:
	v_mov_b32_e32 v11, s1
	v_mov_b32_e32 v12, v6
	;; [unrolled: 1-line block ×4, first 2 shown]
	global_store_dwordx4 v[0:1], v[11:14], off offset:8
.LBB1_205:
	s_or_b32 exec_lo, exec_lo, s6
	s_lshl_b64 s[8:9], s[8:9], 12
	v_and_or_b32 v3, 0xffffff1f, v3, 32
	v_add_co_u32 v9, vcc_lo, v9, s8
	v_add_co_ci_u32_e64 v10, null, s9, v10, vcc_lo
	s_mov_b32 s8, 0
	v_readfirstlane_b32 s12, v9
	s_mov_b32 s11, s8
	v_add_co_u32 v9, vcc_lo, v9, v32
	s_mov_b32 s9, s8
	s_mov_b32 s10, s8
	v_readfirstlane_b32 s13, v10
	v_mov_b32_e32 v14, s11
	v_add_co_ci_u32_e64 v10, null, 0, v10, vcc_lo
	v_mov_b32_e32 v13, s10
	v_mov_b32_e32 v12, s9
	;; [unrolled: 1-line block ×3, first 2 shown]
	global_store_dwordx4 v32, v[3:6], s[12:13]
	global_store_dwordx4 v32, v[11:14], s[12:13] offset:16
	global_store_dwordx4 v32, v[11:14], s[12:13] offset:32
	;; [unrolled: 1-line block ×3, first 2 shown]
	s_and_saveexec_b32 s1, s0
	s_cbranch_execz .LBB1_213
; %bb.206:
	v_mov_b32_e32 v11, 0
	v_mov_b32_e32 v12, s4
	;; [unrolled: 1-line block ×3, first 2 shown]
	s_clause 0x1
	global_load_dwordx2 v[14:15], v11, s[2:3] offset:32 glc dlc
	global_load_dwordx2 v[3:4], v11, s[2:3] offset:40
	s_waitcnt vmcnt(0)
	v_readfirstlane_b32 s8, v3
	v_readfirstlane_b32 s9, v4
	s_and_b64 s[8:9], s[8:9], s[4:5]
	s_mul_i32 s6, s9, 24
	s_mul_hi_u32 s9, s8, 24
	s_mul_i32 s8, s8, 24
	s_add_i32 s9, s9, s6
	v_add_co_u32 v7, vcc_lo, v7, s8
	v_add_co_ci_u32_e64 v8, null, s9, v8, vcc_lo
	s_mov_b32 s6, exec_lo
	global_store_dwordx2 v[7:8], v[14:15], off
	s_waitcnt_vscnt null, 0x0
	global_atomic_cmpswap_x2 v[5:6], v11, v[12:15], s[2:3] offset:32 glc
	s_waitcnt vmcnt(0)
	v_cmpx_ne_u64_e64 v[5:6], v[14:15]
	s_cbranch_execz .LBB1_209
; %bb.207:
	s_mov_b32 s8, 0
.LBB1_208:                              ; =>This Inner Loop Header: Depth=1
	v_mov_b32_e32 v3, s4
	v_mov_b32_e32 v4, s5
	s_sleep 1
	global_store_dwordx2 v[7:8], v[5:6], off
	s_waitcnt_vscnt null, 0x0
	global_atomic_cmpswap_x2 v[3:4], v11, v[3:6], s[2:3] offset:32 glc
	s_waitcnt vmcnt(0)
	v_cmp_eq_u64_e32 vcc_lo, v[3:4], v[5:6]
	v_mov_b32_e32 v6, v4
	v_mov_b32_e32 v5, v3
	s_or_b32 s8, vcc_lo, s8
	s_andn2_b32 exec_lo, exec_lo, s8
	s_cbranch_execnz .LBB1_208
.LBB1_209:
	s_or_b32 exec_lo, exec_lo, s6
	v_mov_b32_e32 v6, 0
	s_mov_b32 s8, exec_lo
	s_mov_b32 s6, exec_lo
	v_mbcnt_lo_u32_b32 v5, s8, 0
	global_load_dwordx2 v[3:4], v6, s[2:3] offset:16
	v_cmpx_eq_u32_e32 0, v5
	s_cbranch_execz .LBB1_211
; %bb.210:
	s_bcnt1_i32_b32 s8, s8
	v_mov_b32_e32 v5, s8
	s_waitcnt vmcnt(0)
	global_atomic_add_x2 v[3:4], v[5:6], off offset:8
.LBB1_211:
	s_or_b32 exec_lo, exec_lo, s6
	s_waitcnt vmcnt(0)
	global_load_dwordx2 v[5:6], v[3:4], off offset:16
	s_waitcnt vmcnt(0)
	v_cmp_eq_u64_e32 vcc_lo, 0, v[5:6]
	s_cbranch_vccnz .LBB1_213
; %bb.212:
	global_load_dword v3, v[3:4], off offset:24
	v_mov_b32_e32 v4, 0
	s_waitcnt vmcnt(0)
	v_readfirstlane_b32 s6, v3
	s_waitcnt_vscnt null, 0x0
	global_store_dwordx2 v[5:6], v[3:4], off
	s_and_b32 m0, s6, 0x7fffff
	s_sendmsg sendmsg(MSG_INTERRUPT)
.LBB1_213:
	s_or_b32 exec_lo, exec_lo, s1
	s_branch .LBB1_217
	.p2align	6
.LBB1_214:                              ;   in Loop: Header=BB1_217 Depth=1
	s_or_b32 exec_lo, exec_lo, s1
	v_readfirstlane_b32 s1, v3
	s_cmp_eq_u32 s1, 0
	s_cbranch_scc1 .LBB1_216
; %bb.215:                              ;   in Loop: Header=BB1_217 Depth=1
	s_sleep 1
	s_cbranch_execnz .LBB1_217
	s_branch .LBB1_219
	.p2align	6
.LBB1_216:
	s_branch .LBB1_219
.LBB1_217:                              ; =>This Inner Loop Header: Depth=1
	v_mov_b32_e32 v3, 1
	s_and_saveexec_b32 s1, s0
	s_cbranch_execz .LBB1_214
; %bb.218:                              ;   in Loop: Header=BB1_217 Depth=1
	global_load_dword v3, v[0:1], off offset:20 glc dlc
	s_waitcnt vmcnt(0)
	buffer_gl1_inv
	buffer_gl0_inv
	v_and_b32_e32 v3, 1, v3
	s_branch .LBB1_214
.LBB1_219:
	global_load_dwordx2 v[3:4], v[9:10], off
	s_and_saveexec_b32 s6, s0
	s_cbranch_execz .LBB1_223
; %bb.220:
	v_mov_b32_e32 v9, 0
	s_clause 0x2
	global_load_dwordx2 v[0:1], v9, s[2:3] offset:40
	global_load_dwordx2 v[12:13], v9, s[2:3] offset:24 glc dlc
	global_load_dwordx2 v[5:6], v9, s[2:3]
	s_waitcnt vmcnt(2)
	v_readfirstlane_b32 s8, v0
	v_readfirstlane_b32 s9, v1
	s_add_u32 s10, s8, 1
	s_addc_u32 s11, s9, 0
	s_add_u32 s0, s10, s4
	s_addc_u32 s1, s11, s5
	s_cmp_eq_u64 s[0:1], 0
	s_cselect_b32 s1, s11, s1
	s_cselect_b32 s0, s10, s0
	v_mov_b32_e32 v11, s1
	s_and_b64 s[4:5], s[0:1], s[8:9]
	v_mov_b32_e32 v10, s0
	s_mul_i32 s5, s5, 24
	s_mul_hi_u32 s8, s4, 24
	s_mul_i32 s4, s4, 24
	s_add_i32 s8, s8, s5
	s_waitcnt vmcnt(0)
	v_add_co_u32 v0, vcc_lo, v5, s4
	v_add_co_ci_u32_e64 v1, null, s8, v6, vcc_lo
	global_store_dwordx2 v[0:1], v[12:13], off
	s_waitcnt_vscnt null, 0x0
	global_atomic_cmpswap_x2 v[7:8], v9, v[10:13], s[2:3] offset:24 glc
	s_waitcnt vmcnt(0)
	v_cmp_ne_u64_e32 vcc_lo, v[7:8], v[12:13]
	s_and_b32 exec_lo, exec_lo, vcc_lo
	s_cbranch_execz .LBB1_223
; %bb.221:
	s_mov_b32 s4, 0
.LBB1_222:                              ; =>This Inner Loop Header: Depth=1
	v_mov_b32_e32 v5, s0
	v_mov_b32_e32 v6, s1
	s_sleep 1
	global_store_dwordx2 v[0:1], v[7:8], off
	s_waitcnt_vscnt null, 0x0
	global_atomic_cmpswap_x2 v[5:6], v9, v[5:8], s[2:3] offset:24 glc
	s_waitcnt vmcnt(0)
	v_cmp_eq_u64_e32 vcc_lo, v[5:6], v[7:8]
	v_mov_b32_e32 v8, v6
	v_mov_b32_e32 v7, v5
	s_or_b32 s4, vcc_lo, s4
	s_andn2_b32 exec_lo, exec_lo, s4
	s_cbranch_execnz .LBB1_222
.LBB1_223:
	s_or_b32 exec_lo, exec_lo, s6
	v_readfirstlane_b32 s0, v33
	v_mov_b32_e32 v0, 0
	v_mov_b32_e32 v1, 0
	v_cmp_eq_u32_e64 s0, s0, v33
	s_and_saveexec_b32 s1, s0
	s_cbranch_execz .LBB1_229
; %bb.224:
	v_mov_b32_e32 v5, 0
	s_mov_b32 s4, exec_lo
	global_load_dwordx2 v[8:9], v5, s[2:3] offset:24 glc dlc
	s_waitcnt vmcnt(0)
	buffer_gl1_inv
	buffer_gl0_inv
	s_clause 0x1
	global_load_dwordx2 v[0:1], v5, s[2:3] offset:40
	global_load_dwordx2 v[6:7], v5, s[2:3]
	s_waitcnt vmcnt(1)
	v_and_b32_e32 v1, v1, v9
	v_and_b32_e32 v0, v0, v8
	v_mul_lo_u32 v1, v1, 24
	v_mul_hi_u32 v10, v0, 24
	v_mul_lo_u32 v0, v0, 24
	v_add_nc_u32_e32 v1, v10, v1
	s_waitcnt vmcnt(0)
	v_add_co_u32 v0, vcc_lo, v6, v0
	v_add_co_ci_u32_e64 v1, null, v7, v1, vcc_lo
	global_load_dwordx2 v[6:7], v[0:1], off glc dlc
	s_waitcnt vmcnt(0)
	global_atomic_cmpswap_x2 v[0:1], v5, v[6:9], s[2:3] offset:24 glc
	s_waitcnt vmcnt(0)
	buffer_gl1_inv
	buffer_gl0_inv
	v_cmpx_ne_u64_e64 v[0:1], v[8:9]
	s_cbranch_execz .LBB1_228
; %bb.225:
	s_mov_b32 s5, 0
	.p2align	6
.LBB1_226:                              ; =>This Inner Loop Header: Depth=1
	s_sleep 1
	s_clause 0x1
	global_load_dwordx2 v[6:7], v5, s[2:3] offset:40
	global_load_dwordx2 v[10:11], v5, s[2:3]
	v_mov_b32_e32 v9, v1
	v_mov_b32_e32 v8, v0
	s_waitcnt vmcnt(1)
	v_and_b32_e32 v0, v6, v8
	v_and_b32_e32 v6, v7, v9
	s_waitcnt vmcnt(0)
	v_mad_u64_u32 v[0:1], null, v0, 24, v[10:11]
	v_mad_u64_u32 v[6:7], null, v6, 24, v[1:2]
	v_mov_b32_e32 v1, v6
	global_load_dwordx2 v[6:7], v[0:1], off glc dlc
	s_waitcnt vmcnt(0)
	global_atomic_cmpswap_x2 v[0:1], v5, v[6:9], s[2:3] offset:24 glc
	s_waitcnt vmcnt(0)
	buffer_gl1_inv
	buffer_gl0_inv
	v_cmp_eq_u64_e32 vcc_lo, v[0:1], v[8:9]
	s_or_b32 s5, vcc_lo, s5
	s_andn2_b32 exec_lo, exec_lo, s5
	s_cbranch_execnz .LBB1_226
; %bb.227:
	s_or_b32 exec_lo, exec_lo, s5
.LBB1_228:
	s_or_b32 exec_lo, exec_lo, s4
.LBB1_229:
	s_or_b32 exec_lo, exec_lo, s1
	v_mov_b32_e32 v6, 0
	v_readfirstlane_b32 s5, v1
	v_readfirstlane_b32 s4, v0
	s_mov_b32 s1, exec_lo
	s_clause 0x1
	global_load_dwordx2 v[11:12], v6, s[2:3] offset:40
	global_load_dwordx4 v[7:10], v6, s[2:3]
	s_waitcnt vmcnt(1)
	v_readfirstlane_b32 s8, v11
	v_readfirstlane_b32 s9, v12
	s_and_b64 s[8:9], s[8:9], s[4:5]
	s_mul_i32 s6, s9, 24
	s_mul_hi_u32 s10, s8, 24
	s_mul_i32 s11, s8, 24
	s_add_i32 s10, s10, s6
	s_waitcnt vmcnt(0)
	v_add_co_u32 v0, vcc_lo, v7, s11
	v_add_co_ci_u32_e64 v1, null, s10, v8, vcc_lo
	s_and_saveexec_b32 s6, s0
	s_cbranch_execz .LBB1_231
; %bb.230:
	v_mov_b32_e32 v5, s1
	v_mov_b32_e32 v12, v6
	;; [unrolled: 1-line block ×5, first 2 shown]
	global_store_dwordx4 v[0:1], v[11:14], off offset:8
.LBB1_231:
	s_or_b32 exec_lo, exec_lo, s6
	s_lshl_b64 s[8:9], s[8:9], 12
	v_and_or_b32 v3, 0xffffff1f, v3, 32
	v_add_co_u32 v9, vcc_lo, v9, s8
	v_add_co_ci_u32_e64 v10, null, s9, v10, vcc_lo
	s_mov_b32 s8, 0
	v_readfirstlane_b32 s6, v9
	s_mov_b32 s11, s8
	v_add_co_u32 v9, vcc_lo, v9, v32
	s_mov_b32 s9, s8
	s_mov_b32 s10, s8
	v_mov_b32_e32 v5, s7
	v_readfirstlane_b32 s7, v10
	v_mov_b32_e32 v14, s11
	v_add_co_ci_u32_e64 v10, null, 0, v10, vcc_lo
	v_mov_b32_e32 v13, s10
	v_mov_b32_e32 v12, s9
	;; [unrolled: 1-line block ×3, first 2 shown]
	global_store_dwordx4 v32, v[3:6], s[6:7]
	global_store_dwordx4 v32, v[11:14], s[6:7] offset:16
	global_store_dwordx4 v32, v[11:14], s[6:7] offset:32
	;; [unrolled: 1-line block ×3, first 2 shown]
	s_and_saveexec_b32 s1, s0
	s_cbranch_execz .LBB1_239
; %bb.232:
	v_mov_b32_e32 v11, 0
	v_mov_b32_e32 v12, s4
	;; [unrolled: 1-line block ×3, first 2 shown]
	s_clause 0x1
	global_load_dwordx2 v[14:15], v11, s[2:3] offset:32 glc dlc
	global_load_dwordx2 v[3:4], v11, s[2:3] offset:40
	s_waitcnt vmcnt(0)
	v_readfirstlane_b32 s6, v3
	v_readfirstlane_b32 s7, v4
	s_and_b64 s[6:7], s[6:7], s[4:5]
	s_mul_i32 s7, s7, 24
	s_mul_hi_u32 s8, s6, 24
	s_mul_i32 s6, s6, 24
	s_add_i32 s8, s8, s7
	v_add_co_u32 v7, vcc_lo, v7, s6
	v_add_co_ci_u32_e64 v8, null, s8, v8, vcc_lo
	s_mov_b32 s6, exec_lo
	global_store_dwordx2 v[7:8], v[14:15], off
	s_waitcnt_vscnt null, 0x0
	global_atomic_cmpswap_x2 v[5:6], v11, v[12:15], s[2:3] offset:32 glc
	s_waitcnt vmcnt(0)
	v_cmpx_ne_u64_e64 v[5:6], v[14:15]
	s_cbranch_execz .LBB1_235
; %bb.233:
	s_mov_b32 s7, 0
.LBB1_234:                              ; =>This Inner Loop Header: Depth=1
	v_mov_b32_e32 v3, s4
	v_mov_b32_e32 v4, s5
	s_sleep 1
	global_store_dwordx2 v[7:8], v[5:6], off
	s_waitcnt_vscnt null, 0x0
	global_atomic_cmpswap_x2 v[3:4], v11, v[3:6], s[2:3] offset:32 glc
	s_waitcnt vmcnt(0)
	v_cmp_eq_u64_e32 vcc_lo, v[3:4], v[5:6]
	v_mov_b32_e32 v6, v4
	v_mov_b32_e32 v5, v3
	s_or_b32 s7, vcc_lo, s7
	s_andn2_b32 exec_lo, exec_lo, s7
	s_cbranch_execnz .LBB1_234
.LBB1_235:
	s_or_b32 exec_lo, exec_lo, s6
	v_mov_b32_e32 v6, 0
	s_mov_b32 s7, exec_lo
	s_mov_b32 s6, exec_lo
	v_mbcnt_lo_u32_b32 v5, s7, 0
	global_load_dwordx2 v[3:4], v6, s[2:3] offset:16
	v_cmpx_eq_u32_e32 0, v5
	s_cbranch_execz .LBB1_237
; %bb.236:
	s_bcnt1_i32_b32 s7, s7
	v_mov_b32_e32 v5, s7
	s_waitcnt vmcnt(0)
	global_atomic_add_x2 v[3:4], v[5:6], off offset:8
.LBB1_237:
	s_or_b32 exec_lo, exec_lo, s6
	s_waitcnt vmcnt(0)
	global_load_dwordx2 v[5:6], v[3:4], off offset:16
	s_waitcnt vmcnt(0)
	v_cmp_eq_u64_e32 vcc_lo, 0, v[5:6]
	s_cbranch_vccnz .LBB1_239
; %bb.238:
	global_load_dword v3, v[3:4], off offset:24
	v_mov_b32_e32 v4, 0
	s_waitcnt vmcnt(0)
	v_readfirstlane_b32 s6, v3
	s_waitcnt_vscnt null, 0x0
	global_store_dwordx2 v[5:6], v[3:4], off
	s_and_b32 m0, s6, 0x7fffff
	s_sendmsg sendmsg(MSG_INTERRUPT)
.LBB1_239:
	s_or_b32 exec_lo, exec_lo, s1
	s_branch .LBB1_243
	.p2align	6
.LBB1_240:                              ;   in Loop: Header=BB1_243 Depth=1
	s_or_b32 exec_lo, exec_lo, s1
	v_readfirstlane_b32 s1, v3
	s_cmp_eq_u32 s1, 0
	s_cbranch_scc1 .LBB1_242
; %bb.241:                              ;   in Loop: Header=BB1_243 Depth=1
	s_sleep 1
	s_cbranch_execnz .LBB1_243
	s_branch .LBB1_245
	.p2align	6
.LBB1_242:
	s_branch .LBB1_245
.LBB1_243:                              ; =>This Inner Loop Header: Depth=1
	v_mov_b32_e32 v3, 1
	s_and_saveexec_b32 s1, s0
	s_cbranch_execz .LBB1_240
; %bb.244:                              ;   in Loop: Header=BB1_243 Depth=1
	global_load_dword v3, v[0:1], off offset:20 glc dlc
	s_waitcnt vmcnt(0)
	buffer_gl1_inv
	buffer_gl0_inv
	v_and_b32_e32 v3, 1, v3
	s_branch .LBB1_240
.LBB1_245:
	global_load_dwordx2 v[0:1], v[9:10], off
	s_and_saveexec_b32 s6, s0
	s_cbranch_execz .LBB1_249
; %bb.246:
	v_mov_b32_e32 v9, 0
	s_clause 0x2
	global_load_dwordx2 v[3:4], v9, s[2:3] offset:40
	global_load_dwordx2 v[12:13], v9, s[2:3] offset:24 glc dlc
	global_load_dwordx2 v[5:6], v9, s[2:3]
	s_waitcnt vmcnt(2)
	v_readfirstlane_b32 s8, v3
	v_readfirstlane_b32 s9, v4
	s_add_u32 s7, s8, 1
	s_addc_u32 s10, s9, 0
	s_add_u32 s0, s7, s4
	s_addc_u32 s1, s10, s5
	s_cmp_eq_u64 s[0:1], 0
	s_cselect_b32 s1, s10, s1
	s_cselect_b32 s0, s7, s0
	v_mov_b32_e32 v11, s1
	s_and_b64 s[4:5], s[0:1], s[8:9]
	v_mov_b32_e32 v10, s0
	s_mul_i32 s5, s5, 24
	s_mul_hi_u32 s7, s4, 24
	s_mul_i32 s4, s4, 24
	s_add_i32 s7, s7, s5
	s_waitcnt vmcnt(0)
	v_add_co_u32 v7, vcc_lo, v5, s4
	v_add_co_ci_u32_e64 v8, null, s7, v6, vcc_lo
	global_store_dwordx2 v[7:8], v[12:13], off
	s_waitcnt_vscnt null, 0x0
	global_atomic_cmpswap_x2 v[5:6], v9, v[10:13], s[2:3] offset:24 glc
	s_waitcnt vmcnt(0)
	v_cmp_ne_u64_e32 vcc_lo, v[5:6], v[12:13]
	s_and_b32 exec_lo, exec_lo, vcc_lo
	s_cbranch_execz .LBB1_249
; %bb.247:
	s_mov_b32 s4, 0
.LBB1_248:                              ; =>This Inner Loop Header: Depth=1
	v_mov_b32_e32 v3, s0
	v_mov_b32_e32 v4, s1
	s_sleep 1
	global_store_dwordx2 v[7:8], v[5:6], off
	s_waitcnt_vscnt null, 0x0
	global_atomic_cmpswap_x2 v[3:4], v9, v[3:6], s[2:3] offset:24 glc
	s_waitcnt vmcnt(0)
	v_cmp_eq_u64_e32 vcc_lo, v[3:4], v[5:6]
	v_mov_b32_e32 v6, v4
	v_mov_b32_e32 v5, v3
	s_or_b32 s4, vcc_lo, s4
	s_andn2_b32 exec_lo, exec_lo, s4
	s_cbranch_execnz .LBB1_248
.LBB1_249:
	s_or_b32 exec_lo, exec_lo, s6
	v_readfirstlane_b32 s0, v33
	v_mov_b32_e32 v8, 0
	v_mov_b32_e32 v9, 0
	v_cmp_eq_u32_e64 s0, s0, v33
	s_and_saveexec_b32 s1, s0
	s_cbranch_execz .LBB1_255
; %bb.250:
	v_mov_b32_e32 v3, 0
	s_mov_b32 s4, exec_lo
	global_load_dwordx2 v[6:7], v3, s[2:3] offset:24 glc dlc
	s_waitcnt vmcnt(0)
	buffer_gl1_inv
	buffer_gl0_inv
	s_clause 0x1
	global_load_dwordx2 v[4:5], v3, s[2:3] offset:40
	global_load_dwordx2 v[8:9], v3, s[2:3]
	s_waitcnt vmcnt(1)
	v_and_b32_e32 v5, v5, v7
	v_and_b32_e32 v4, v4, v6
	v_mul_lo_u32 v5, v5, 24
	v_mul_hi_u32 v10, v4, 24
	v_mul_lo_u32 v4, v4, 24
	v_add_nc_u32_e32 v5, v10, v5
	s_waitcnt vmcnt(0)
	v_add_co_u32 v4, vcc_lo, v8, v4
	v_add_co_ci_u32_e64 v5, null, v9, v5, vcc_lo
	global_load_dwordx2 v[4:5], v[4:5], off glc dlc
	s_waitcnt vmcnt(0)
	global_atomic_cmpswap_x2 v[8:9], v3, v[4:7], s[2:3] offset:24 glc
	s_waitcnt vmcnt(0)
	buffer_gl1_inv
	buffer_gl0_inv
	v_cmpx_ne_u64_e64 v[8:9], v[6:7]
	s_cbranch_execz .LBB1_254
; %bb.251:
	s_mov_b32 s5, 0
	.p2align	6
.LBB1_252:                              ; =>This Inner Loop Header: Depth=1
	s_sleep 1
	s_clause 0x1
	global_load_dwordx2 v[4:5], v3, s[2:3] offset:40
	global_load_dwordx2 v[10:11], v3, s[2:3]
	v_mov_b32_e32 v6, v8
	v_mov_b32_e32 v7, v9
	s_waitcnt vmcnt(1)
	v_and_b32_e32 v4, v4, v6
	v_and_b32_e32 v5, v5, v7
	s_waitcnt vmcnt(0)
	v_mad_u64_u32 v[8:9], null, v4, 24, v[10:11]
	v_mov_b32_e32 v4, v9
	v_mad_u64_u32 v[4:5], null, v5, 24, v[4:5]
	v_mov_b32_e32 v9, v4
	global_load_dwordx2 v[4:5], v[8:9], off glc dlc
	s_waitcnt vmcnt(0)
	global_atomic_cmpswap_x2 v[8:9], v3, v[4:7], s[2:3] offset:24 glc
	s_waitcnt vmcnt(0)
	buffer_gl1_inv
	buffer_gl0_inv
	v_cmp_eq_u64_e32 vcc_lo, v[8:9], v[6:7]
	s_or_b32 s5, vcc_lo, s5
	s_andn2_b32 exec_lo, exec_lo, s5
	s_cbranch_execnz .LBB1_252
; %bb.253:
	s_or_b32 exec_lo, exec_lo, s5
.LBB1_254:
	s_or_b32 exec_lo, exec_lo, s4
.LBB1_255:
	s_or_b32 exec_lo, exec_lo, s1
	v_mov_b32_e32 v3, 0
	v_readfirstlane_b32 s5, v9
	v_readfirstlane_b32 s4, v8
	s_mov_b32 s1, exec_lo
	s_clause 0x1
	global_load_dwordx2 v[10:11], v3, s[2:3] offset:40
	global_load_dwordx4 v[4:7], v3, s[2:3]
	s_waitcnt vmcnt(1)
	v_readfirstlane_b32 s6, v10
	v_readfirstlane_b32 s7, v11
	s_and_b64 s[6:7], s[6:7], s[4:5]
	s_mul_i32 s8, s7, 24
	s_mul_hi_u32 s9, s6, 24
	s_mul_i32 s10, s6, 24
	s_add_i32 s9, s9, s8
	s_waitcnt vmcnt(0)
	v_add_co_u32 v8, vcc_lo, v4, s10
	v_add_co_ci_u32_e64 v9, null, s9, v5, vcc_lo
	s_and_saveexec_b32 s8, s0
	s_cbranch_execz .LBB1_257
; %bb.256:
	v_mov_b32_e32 v10, s1
	v_mov_b32_e32 v11, v3
	;; [unrolled: 1-line block ×4, first 2 shown]
	global_store_dwordx4 v[8:9], v[10:13], off offset:8
.LBB1_257:
	s_or_b32 exec_lo, exec_lo, s8
	s_lshl_b64 s[6:7], s[6:7], 12
	s_mov_b32 s8, 0
	v_add_co_u32 v6, vcc_lo, v6, s6
	v_add_co_ci_u32_e64 v7, null, s7, v7, vcc_lo
	s_mov_b32 s11, s8
	s_mov_b32 s9, s8
	;; [unrolled: 1-line block ×3, first 2 shown]
	v_and_or_b32 v0, 0xffffff1d, v0, 34
	v_readfirstlane_b32 s6, v6
	v_readfirstlane_b32 s7, v7
	v_mov_b32_e32 v13, s11
	v_mov_b32_e32 v12, s10
	;; [unrolled: 1-line block ×4, first 2 shown]
	global_store_dwordx4 v32, v[0:3], s[6:7]
	global_store_dwordx4 v32, v[10:13], s[6:7] offset:16
	global_store_dwordx4 v32, v[10:13], s[6:7] offset:32
	;; [unrolled: 1-line block ×3, first 2 shown]
	s_and_saveexec_b32 s1, s0
	s_cbranch_execz .LBB1_265
; %bb.258:
	v_mov_b32_e32 v6, 0
	v_mov_b32_e32 v10, s4
	;; [unrolled: 1-line block ×3, first 2 shown]
	s_clause 0x1
	global_load_dwordx2 v[12:13], v6, s[2:3] offset:32 glc dlc
	global_load_dwordx2 v[0:1], v6, s[2:3] offset:40
	s_waitcnt vmcnt(0)
	v_readfirstlane_b32 s6, v0
	v_readfirstlane_b32 s7, v1
	s_and_b64 s[6:7], s[6:7], s[4:5]
	s_mul_i32 s7, s7, 24
	s_mul_hi_u32 s8, s6, 24
	s_mul_i32 s6, s6, 24
	s_add_i32 s8, s8, s7
	v_add_co_u32 v4, vcc_lo, v4, s6
	v_add_co_ci_u32_e64 v5, null, s8, v5, vcc_lo
	s_mov_b32 s6, exec_lo
	global_store_dwordx2 v[4:5], v[12:13], off
	s_waitcnt_vscnt null, 0x0
	global_atomic_cmpswap_x2 v[2:3], v6, v[10:13], s[2:3] offset:32 glc
	s_waitcnt vmcnt(0)
	v_cmpx_ne_u64_e64 v[2:3], v[12:13]
	s_cbranch_execz .LBB1_261
; %bb.259:
	s_mov_b32 s7, 0
.LBB1_260:                              ; =>This Inner Loop Header: Depth=1
	v_mov_b32_e32 v0, s4
	v_mov_b32_e32 v1, s5
	s_sleep 1
	global_store_dwordx2 v[4:5], v[2:3], off
	s_waitcnt_vscnt null, 0x0
	global_atomic_cmpswap_x2 v[0:1], v6, v[0:3], s[2:3] offset:32 glc
	s_waitcnt vmcnt(0)
	v_cmp_eq_u64_e32 vcc_lo, v[0:1], v[2:3]
	v_mov_b32_e32 v3, v1
	v_mov_b32_e32 v2, v0
	s_or_b32 s7, vcc_lo, s7
	s_andn2_b32 exec_lo, exec_lo, s7
	s_cbranch_execnz .LBB1_260
.LBB1_261:
	s_or_b32 exec_lo, exec_lo, s6
	v_mov_b32_e32 v3, 0
	s_mov_b32 s7, exec_lo
	s_mov_b32 s6, exec_lo
	v_mbcnt_lo_u32_b32 v2, s7, 0
	global_load_dwordx2 v[0:1], v3, s[2:3] offset:16
	v_cmpx_eq_u32_e32 0, v2
	s_cbranch_execz .LBB1_263
; %bb.262:
	s_bcnt1_i32_b32 s7, s7
	v_mov_b32_e32 v2, s7
	s_waitcnt vmcnt(0)
	global_atomic_add_x2 v[0:1], v[2:3], off offset:8
.LBB1_263:
	s_or_b32 exec_lo, exec_lo, s6
	s_waitcnt vmcnt(0)
	global_load_dwordx2 v[2:3], v[0:1], off offset:16
	s_waitcnt vmcnt(0)
	v_cmp_eq_u64_e32 vcc_lo, 0, v[2:3]
	s_cbranch_vccnz .LBB1_265
; %bb.264:
	global_load_dword v0, v[0:1], off offset:24
	v_mov_b32_e32 v1, 0
	s_waitcnt vmcnt(0)
	v_readfirstlane_b32 s6, v0
	s_waitcnt_vscnt null, 0x0
	global_store_dwordx2 v[2:3], v[0:1], off
	s_and_b32 m0, s6, 0x7fffff
	s_sendmsg sendmsg(MSG_INTERRUPT)
.LBB1_265:
	s_or_b32 exec_lo, exec_lo, s1
	s_branch .LBB1_269
	.p2align	6
.LBB1_266:                              ;   in Loop: Header=BB1_269 Depth=1
	s_or_b32 exec_lo, exec_lo, s1
	v_readfirstlane_b32 s1, v0
	s_cmp_eq_u32 s1, 0
	s_cbranch_scc1 .LBB1_268
; %bb.267:                              ;   in Loop: Header=BB1_269 Depth=1
	s_sleep 1
	s_cbranch_execnz .LBB1_269
	s_branch .LBB1_271
	.p2align	6
.LBB1_268:
	s_branch .LBB1_271
.LBB1_269:                              ; =>This Inner Loop Header: Depth=1
	v_mov_b32_e32 v0, 1
	s_and_saveexec_b32 s1, s0
	s_cbranch_execz .LBB1_266
; %bb.270:                              ;   in Loop: Header=BB1_269 Depth=1
	global_load_dword v0, v[8:9], off offset:20 glc dlc
	s_waitcnt vmcnt(0)
	buffer_gl1_inv
	buffer_gl0_inv
	v_and_b32_e32 v0, 1, v0
	s_branch .LBB1_266
.LBB1_271:
	s_and_b32 exec_lo, exec_lo, s0
	s_cbranch_execz .LBB1_275
; %bb.272:
	v_mov_b32_e32 v6, 0
	s_clause 0x2
	global_load_dwordx2 v[0:1], v6, s[2:3] offset:40
	global_load_dwordx2 v[9:10], v6, s[2:3] offset:24 glc dlc
	global_load_dwordx2 v[2:3], v6, s[2:3]
	s_waitcnt vmcnt(2)
	v_readfirstlane_b32 s6, v0
	v_readfirstlane_b32 s7, v1
	s_add_u32 s8, s6, 1
	s_addc_u32 s9, s7, 0
	s_add_u32 s0, s8, s4
	s_addc_u32 s1, s9, s5
	s_cmp_eq_u64 s[0:1], 0
	s_cselect_b32 s1, s9, s1
	s_cselect_b32 s0, s8, s0
	v_mov_b32_e32 v8, s1
	s_and_b64 s[4:5], s[0:1], s[6:7]
	v_mov_b32_e32 v7, s0
	s_mul_i32 s5, s5, 24
	s_mul_hi_u32 s6, s4, 24
	s_mul_i32 s4, s4, 24
	s_add_i32 s6, s6, s5
	s_waitcnt vmcnt(0)
	v_add_co_u32 v4, vcc_lo, v2, s4
	v_add_co_ci_u32_e64 v5, null, s6, v3, vcc_lo
	global_store_dwordx2 v[4:5], v[9:10], off
	s_waitcnt_vscnt null, 0x0
	global_atomic_cmpswap_x2 v[2:3], v6, v[7:10], s[2:3] offset:24 glc
	s_waitcnt vmcnt(0)
	v_cmp_ne_u64_e32 vcc_lo, v[2:3], v[9:10]
	s_and_b32 exec_lo, exec_lo, vcc_lo
	s_cbranch_execz .LBB1_275
; %bb.273:
	s_mov_b32 s4, 0
.LBB1_274:                              ; =>This Inner Loop Header: Depth=1
	v_mov_b32_e32 v0, s0
	v_mov_b32_e32 v1, s1
	s_sleep 1
	global_store_dwordx2 v[4:5], v[2:3], off
	s_waitcnt_vscnt null, 0x0
	global_atomic_cmpswap_x2 v[0:1], v6, v[0:3], s[2:3] offset:24 glc
	s_waitcnt vmcnt(0)
	v_cmp_eq_u64_e32 vcc_lo, v[0:1], v[2:3]
	v_mov_b32_e32 v3, v1
	v_mov_b32_e32 v2, v0
	s_or_b32 s4, vcc_lo, s4
	s_andn2_b32 exec_lo, exec_lo, s4
	s_cbranch_execnz .LBB1_274
.LBB1_275:
	s_or_b32 exec_lo, exec_lo, s18
.LBB1_276:
	s_and_b32 vcc_lo, exec_lo, s17
	s_cbranch_vccnz .LBB1_281
; %bb.277:
	s_mov_b32 s1, 0
.LBB1_278:
	s_and_b32 vcc_lo, exec_lo, s1
	s_cbranch_vccnz .LBB1_282
.LBB1_279:
	s_andn2_b32 vcc_lo, exec_lo, s16
	s_cbranch_vccz .LBB1_283
; %bb.280:
	s_endpgm
.LBB1_281:
	s_mov_b32 s16, -1
	s_trap 2
	s_branch .LBB1_279
.LBB1_282:
	s_trap 2
.LBB1_283:
	; divergent unreachable
	s_endpgm
	.section	.rodata,"a",@progbits
	.p2align	6, 0x0
	.amdhsa_kernel _Z32kernel_cg_group_partition_nestedjjPibS_
		.amdhsa_group_segment_fixed_size 0
		.amdhsa_private_segment_fixed_size 0
		.amdhsa_kernarg_size 288
		.amdhsa_user_sgpr_count 6
		.amdhsa_user_sgpr_private_segment_buffer 1
		.amdhsa_user_sgpr_dispatch_ptr 0
		.amdhsa_user_sgpr_queue_ptr 0
		.amdhsa_user_sgpr_kernarg_segment_ptr 1
		.amdhsa_user_sgpr_dispatch_id 0
		.amdhsa_user_sgpr_flat_scratch_init 0
		.amdhsa_user_sgpr_private_segment_size 0
		.amdhsa_wavefront_size32 1
		.amdhsa_uses_dynamic_stack 0
		.amdhsa_system_sgpr_private_segment_wavefront_offset 0
		.amdhsa_system_sgpr_workgroup_id_x 1
		.amdhsa_system_sgpr_workgroup_id_y 0
		.amdhsa_system_sgpr_workgroup_id_z 0
		.amdhsa_system_sgpr_workgroup_info 0
		.amdhsa_system_vgpr_workitem_id 2
		.amdhsa_next_free_vgpr 36
		.amdhsa_next_free_sgpr 24
		.amdhsa_reserve_vcc 1
		.amdhsa_reserve_flat_scratch 0
		.amdhsa_float_round_mode_32 0
		.amdhsa_float_round_mode_16_64 0
		.amdhsa_float_denorm_mode_32 3
		.amdhsa_float_denorm_mode_16_64 3
		.amdhsa_dx10_clamp 1
		.amdhsa_ieee_mode 1
		.amdhsa_fp16_overflow 0
		.amdhsa_workgroup_processor_mode 1
		.amdhsa_memory_ordered 1
		.amdhsa_forward_progress 1
		.amdhsa_shared_vgpr_count 0
		.amdhsa_exception_fp_ieee_invalid_op 0
		.amdhsa_exception_fp_denorm_src 0
		.amdhsa_exception_fp_ieee_div_zero 0
		.amdhsa_exception_fp_ieee_overflow 0
		.amdhsa_exception_fp_ieee_underflow 0
		.amdhsa_exception_fp_ieee_inexact 0
		.amdhsa_exception_int_div_zero 0
	.end_amdhsa_kernel
	.text
.Lfunc_end1:
	.size	_Z32kernel_cg_group_partition_nestedjjPibS_, .Lfunc_end1-_Z32kernel_cg_group_partition_nestedjjPibS_
                                        ; -- End function
	.set _Z32kernel_cg_group_partition_nestedjjPibS_.num_vgpr, 36
	.set _Z32kernel_cg_group_partition_nestedjjPibS_.num_agpr, 0
	.set _Z32kernel_cg_group_partition_nestedjjPibS_.numbered_sgpr, 24
	.set _Z32kernel_cg_group_partition_nestedjjPibS_.num_named_barrier, 0
	.set _Z32kernel_cg_group_partition_nestedjjPibS_.private_seg_size, 0
	.set _Z32kernel_cg_group_partition_nestedjjPibS_.uses_vcc, 1
	.set _Z32kernel_cg_group_partition_nestedjjPibS_.uses_flat_scratch, 0
	.set _Z32kernel_cg_group_partition_nestedjjPibS_.has_dyn_sized_stack, 0
	.set _Z32kernel_cg_group_partition_nestedjjPibS_.has_recursion, 0
	.set _Z32kernel_cg_group_partition_nestedjjPibS_.has_indirect_call, 0
	.section	.AMDGPU.csdata,"",@progbits
; Kernel info:
; codeLenInByte = 12752
; TotalNumSgprs: 26
; NumVgprs: 36
; ScratchSize: 0
; MemoryBound: 0
; FloatMode: 240
; IeeeMode: 1
; LDSByteSize: 0 bytes/workgroup (compile time only)
; SGPRBlocks: 0
; VGPRBlocks: 4
; NumSGPRsForWavesPerEU: 26
; NumVGPRsForWavesPerEU: 36
; Occupancy: 16
; WaveLimiterHint : 1
; COMPUTE_PGM_RSRC2:SCRATCH_EN: 0
; COMPUTE_PGM_RSRC2:USER_SGPR: 6
; COMPUTE_PGM_RSRC2:TRAP_HANDLER: 0
; COMPUTE_PGM_RSRC2:TGID_X_EN: 1
; COMPUTE_PGM_RSRC2:TGID_Y_EN: 0
; COMPUTE_PGM_RSRC2:TGID_Z_EN: 0
; COMPUTE_PGM_RSRC2:TIDIG_COMP_CNT: 2
	.section	.text._Z32kernel_cg_group_partition_staticILj2EEvPibS0_,"axG",@progbits,_Z32kernel_cg_group_partition_staticILj2EEvPibS0_,comdat
	.protected	_Z32kernel_cg_group_partition_staticILj2EEvPibS0_ ; -- Begin function _Z32kernel_cg_group_partition_staticILj2EEvPibS0_
	.globl	_Z32kernel_cg_group_partition_staticILj2EEvPibS0_
	.p2align	8
	.type	_Z32kernel_cg_group_partition_staticILj2EEvPibS0_,@function
_Z32kernel_cg_group_partition_staticILj2EEvPibS0_: ; @_Z32kernel_cg_group_partition_staticILj2EEvPibS0_
; %bb.0:
	s_mov_b64 s[0:1], src_shared_base
	s_clause 0x2
	s_load_dword s0, s[4:5], 0x8
	s_load_dwordx2 s[6:7], s[4:5], 0x24
	s_load_dwordx2 s[8:9], s[4:5], 0x10
	s_waitcnt lgkmcnt(0)
	s_and_b32 s0, 1, s0
	s_add_u32 s2, s4, 24
	s_addc_u32 s3, s5, 0
	s_lshr_b32 s10, s6, 16
	s_and_b32 s6, s6, 0xffff
	v_mad_u32_u24 v1, v2, s10, v1
	s_and_b32 s7, s7, 0xffff
	s_cmp_lg_u32 0, -1
	s_mul_i32 s20, s10, s6
	s_cselect_b32 s11, 0, 0
	v_mad_u64_u32 v[29:30], null, v1, s6, v[0:1]
	s_cselect_b32 s1, s1, 0
	s_cmp_eq_u32 s0, 1
	s_mul_i32 s20, s20, s7
	s_cselect_b32 s21, s9, s1
	s_cselect_b32 s22, s8, s11
	s_cmp_lt_u32 s20, 2
	s_mov_b32 s1, 0
	s_cbranch_scc1 .LBB2_6
; %bb.1:
	v_ashrrev_i32_e32 v30, 31, v29
	v_mov_b32_e32 v31, v29
	s_mov_b32 s6, s20
	v_lshlrev_b64 v[0:1], 2, v[29:30]
	v_add_co_u32 v0, vcc_lo, s22, v0
	v_add_co_ci_u32_e64 v1, null, s21, v1, vcc_lo
	.p2align	6
.LBB2_2:                                ; =>This Inner Loop Header: Depth=1
	s_lshr_b32 s0, s6, 1
	s_mov_b32 s7, exec_lo
	flat_store_dword v[0:1], v31
	s_waitcnt lgkmcnt(0)
	s_waitcnt_vscnt null, 0x0
	s_barrier
	buffer_gl0_inv
	v_cmpx_gt_i32_e64 s0, v29
	s_cbranch_execz .LBB2_4
; %bb.3:                                ;   in Loop: Header=BB2_2 Depth=1
	s_lshl_b64 s[8:9], s[0:1], 2
	v_add_co_u32 v2, vcc_lo, v0, s8
	v_add_co_ci_u32_e64 v3, null, s9, v1, vcc_lo
	flat_load_dword v2, v[2:3]
	s_waitcnt vmcnt(0) lgkmcnt(0)
	v_add_nc_u32_e32 v31, v2, v31
.LBB2_4:                                ;   in Loop: Header=BB2_2 Depth=1
	s_or_b32 exec_lo, exec_lo, s7
	s_cmp_gt_u32 s6, 3
	s_barrier
	buffer_gl0_inv
	s_cbranch_scc0 .LBB2_7
; %bb.5:                                ;   in Loop: Header=BB2_2 Depth=1
	s_mov_b32 s6, s0
	s_branch .LBB2_2
.LBB2_6:
	v_mov_b32_e32 v31, v29
.LBB2_7:
	v_cmp_eq_u32_e64 s0, 0, v29
	s_and_saveexec_b32 s23, s0
	s_cbranch_execz .LBB2_403
; %bb.8:
	s_load_dwordx2 s[6:7], s[2:3], 0x50
	v_mbcnt_lo_u32_b32 v30, -1, 0
	v_mov_b32_e32 v6, 0
	v_mov_b32_e32 v7, 0
	v_readfirstlane_b32 s1, v30
	v_cmp_eq_u32_e64 s1, s1, v30
	s_and_saveexec_b32 s8, s1
	s_cbranch_execz .LBB2_14
; %bb.9:
	v_mov_b32_e32 v0, 0
	s_mov_b32 s9, exec_lo
	s_waitcnt lgkmcnt(0)
	global_load_dwordx2 v[3:4], v0, s[6:7] offset:24 glc dlc
	s_waitcnt vmcnt(0)
	buffer_gl1_inv
	buffer_gl0_inv
	s_clause 0x1
	global_load_dwordx2 v[1:2], v0, s[6:7] offset:40
	global_load_dwordx2 v[5:6], v0, s[6:7]
	s_waitcnt vmcnt(1)
	v_and_b32_e32 v2, v2, v4
	v_and_b32_e32 v1, v1, v3
	v_mul_lo_u32 v2, v2, 24
	v_mul_hi_u32 v7, v1, 24
	v_mul_lo_u32 v1, v1, 24
	v_add_nc_u32_e32 v2, v7, v2
	s_waitcnt vmcnt(0)
	v_add_co_u32 v1, vcc_lo, v5, v1
	v_add_co_ci_u32_e64 v2, null, v6, v2, vcc_lo
	global_load_dwordx2 v[1:2], v[1:2], off glc dlc
	s_waitcnt vmcnt(0)
	global_atomic_cmpswap_x2 v[6:7], v0, v[1:4], s[6:7] offset:24 glc
	s_waitcnt vmcnt(0)
	buffer_gl1_inv
	buffer_gl0_inv
	v_cmpx_ne_u64_e64 v[6:7], v[3:4]
	s_cbranch_execz .LBB2_13
; %bb.10:
	s_mov_b32 s10, 0
	.p2align	6
.LBB2_11:                               ; =>This Inner Loop Header: Depth=1
	s_sleep 1
	s_clause 0x1
	global_load_dwordx2 v[1:2], v0, s[6:7] offset:40
	global_load_dwordx2 v[8:9], v0, s[6:7]
	v_mov_b32_e32 v3, v6
	v_mov_b32_e32 v4, v7
	s_waitcnt vmcnt(1)
	v_and_b32_e32 v1, v1, v3
	v_and_b32_e32 v2, v2, v4
	s_waitcnt vmcnt(0)
	v_mad_u64_u32 v[5:6], null, v1, 24, v[8:9]
	v_mov_b32_e32 v1, v6
	v_mad_u64_u32 v[1:2], null, v2, 24, v[1:2]
	v_mov_b32_e32 v6, v1
	global_load_dwordx2 v[1:2], v[5:6], off glc dlc
	s_waitcnt vmcnt(0)
	global_atomic_cmpswap_x2 v[6:7], v0, v[1:4], s[6:7] offset:24 glc
	s_waitcnt vmcnt(0)
	buffer_gl1_inv
	buffer_gl0_inv
	v_cmp_eq_u64_e32 vcc_lo, v[6:7], v[3:4]
	s_or_b32 s10, vcc_lo, s10
	s_andn2_b32 exec_lo, exec_lo, s10
	s_cbranch_execnz .LBB2_11
; %bb.12:
	s_or_b32 exec_lo, exec_lo, s10
.LBB2_13:
	s_or_b32 exec_lo, exec_lo, s9
.LBB2_14:
	s_or_b32 exec_lo, exec_lo, s8
	v_mov_b32_e32 v5, 0
	v_readfirstlane_b32 s9, v7
	v_readfirstlane_b32 s8, v6
	s_mov_b32 s12, exec_lo
	s_waitcnt lgkmcnt(0)
	s_clause 0x1
	global_load_dwordx2 v[8:9], v5, s[6:7] offset:40
	global_load_dwordx4 v[0:3], v5, s[6:7]
	s_waitcnt vmcnt(1)
	v_readfirstlane_b32 s10, v8
	v_readfirstlane_b32 s11, v9
	s_and_b64 s[10:11], s[10:11], s[8:9]
	s_mul_i32 s13, s11, 24
	s_mul_hi_u32 s14, s10, 24
	s_mul_i32 s15, s10, 24
	s_add_i32 s14, s14, s13
	s_waitcnt vmcnt(0)
	v_add_co_u32 v8, vcc_lo, v0, s15
	v_add_co_ci_u32_e64 v9, null, s14, v1, vcc_lo
	s_and_saveexec_b32 s13, s1
	s_cbranch_execz .LBB2_16
; %bb.15:
	v_mov_b32_e32 v4, s12
	v_mov_b32_e32 v6, 2
	;; [unrolled: 1-line block ×3, first 2 shown]
	global_store_dwordx4 v[8:9], v[4:7], off offset:8
.LBB2_16:
	s_or_b32 exec_lo, exec_lo, s13
	s_lshl_b64 s[10:11], s[10:11], 12
	v_lshlrev_b32_e32 v28, 6, v30
	v_add_co_u32 v2, vcc_lo, v2, s10
	v_add_co_ci_u32_e64 v3, null, s11, v3, vcc_lo
	s_mov_b32 s12, 0
	v_add_co_u32 v10, vcc_lo, v2, v28
	s_mov_b32 s13, s12
	s_mov_b32 s14, s12
	;; [unrolled: 1-line block ×3, first 2 shown]
	v_mov_b32_e32 v4, 33
	v_mov_b32_e32 v6, v5
	;; [unrolled: 1-line block ×3, first 2 shown]
	v_readfirstlane_b32 s10, v2
	v_readfirstlane_b32 s11, v3
	v_mov_b32_e32 v12, s12
	v_add_co_ci_u32_e64 v11, null, 0, v3, vcc_lo
	v_mov_b32_e32 v13, s13
	v_mov_b32_e32 v14, s14
	;; [unrolled: 1-line block ×3, first 2 shown]
	global_store_dwordx4 v28, v[4:7], s[10:11]
	global_store_dwordx4 v28, v[12:15], s[10:11] offset:16
	global_store_dwordx4 v28, v[12:15], s[10:11] offset:32
	;; [unrolled: 1-line block ×3, first 2 shown]
	s_and_saveexec_b32 s10, s1
	s_cbranch_execz .LBB2_23
; %bb.17:
	v_mov_b32_e32 v6, 0
	v_mov_b32_e32 v12, s8
	;; [unrolled: 1-line block ×3, first 2 shown]
	s_mov_b32 s11, exec_lo
	s_clause 0x1
	global_load_dwordx2 v[14:15], v6, s[6:7] offset:32 glc dlc
	global_load_dwordx2 v[2:3], v6, s[6:7] offset:40
	s_waitcnt vmcnt(0)
	v_and_b32_e32 v3, s9, v3
	v_and_b32_e32 v2, s8, v2
	v_mul_lo_u32 v3, v3, 24
	v_mul_hi_u32 v4, v2, 24
	v_mul_lo_u32 v2, v2, 24
	v_add_nc_u32_e32 v3, v4, v3
	v_add_co_u32 v4, vcc_lo, v0, v2
	v_add_co_ci_u32_e64 v5, null, v1, v3, vcc_lo
	global_store_dwordx2 v[4:5], v[14:15], off
	s_waitcnt_vscnt null, 0x0
	global_atomic_cmpswap_x2 v[2:3], v6, v[12:15], s[6:7] offset:32 glc
	s_waitcnt vmcnt(0)
	v_cmpx_ne_u64_e64 v[2:3], v[14:15]
	s_cbranch_execz .LBB2_19
.LBB2_18:                               ; =>This Inner Loop Header: Depth=1
	v_mov_b32_e32 v0, s8
	v_mov_b32_e32 v1, s9
	s_sleep 1
	global_store_dwordx2 v[4:5], v[2:3], off
	s_waitcnt_vscnt null, 0x0
	global_atomic_cmpswap_x2 v[0:1], v6, v[0:3], s[6:7] offset:32 glc
	s_waitcnt vmcnt(0)
	v_cmp_eq_u64_e32 vcc_lo, v[0:1], v[2:3]
	v_mov_b32_e32 v3, v1
	v_mov_b32_e32 v2, v0
	s_or_b32 s12, vcc_lo, s12
	s_andn2_b32 exec_lo, exec_lo, s12
	s_cbranch_execnz .LBB2_18
.LBB2_19:
	s_or_b32 exec_lo, exec_lo, s11
	v_mov_b32_e32 v3, 0
	s_mov_b32 s12, exec_lo
	s_mov_b32 s11, exec_lo
	v_mbcnt_lo_u32_b32 v2, s12, 0
	global_load_dwordx2 v[0:1], v3, s[6:7] offset:16
	v_cmpx_eq_u32_e32 0, v2
	s_cbranch_execz .LBB2_21
; %bb.20:
	s_bcnt1_i32_b32 s12, s12
	v_mov_b32_e32 v2, s12
	s_waitcnt vmcnt(0)
	global_atomic_add_x2 v[0:1], v[2:3], off offset:8
.LBB2_21:
	s_or_b32 exec_lo, exec_lo, s11
	s_waitcnt vmcnt(0)
	global_load_dwordx2 v[2:3], v[0:1], off offset:16
	s_waitcnt vmcnt(0)
	v_cmp_eq_u64_e32 vcc_lo, 0, v[2:3]
	s_cbranch_vccnz .LBB2_23
; %bb.22:
	global_load_dword v0, v[0:1], off offset:24
	v_mov_b32_e32 v1, 0
	s_waitcnt vmcnt(0)
	v_readfirstlane_b32 s11, v0
	s_waitcnt_vscnt null, 0x0
	global_store_dwordx2 v[2:3], v[0:1], off
	s_and_b32 m0, s11, 0x7fffff
	s_sendmsg sendmsg(MSG_INTERRUPT)
.LBB2_23:
	s_or_b32 exec_lo, exec_lo, s10
	s_branch .LBB2_27
	.p2align	6
.LBB2_24:                               ;   in Loop: Header=BB2_27 Depth=1
	s_or_b32 exec_lo, exec_lo, s10
	v_readfirstlane_b32 s10, v0
	s_cmp_eq_u32 s10, 0
	s_cbranch_scc1 .LBB2_26
; %bb.25:                               ;   in Loop: Header=BB2_27 Depth=1
	s_sleep 1
	s_cbranch_execnz .LBB2_27
	s_branch .LBB2_29
	.p2align	6
.LBB2_26:
	s_branch .LBB2_29
.LBB2_27:                               ; =>This Inner Loop Header: Depth=1
	v_mov_b32_e32 v0, 1
	s_and_saveexec_b32 s10, s1
	s_cbranch_execz .LBB2_24
; %bb.28:                               ;   in Loop: Header=BB2_27 Depth=1
	global_load_dword v0, v[8:9], off offset:20 glc dlc
	s_waitcnt vmcnt(0)
	buffer_gl1_inv
	buffer_gl0_inv
	v_and_b32_e32 v0, 1, v0
	s_branch .LBB2_24
.LBB2_29:
	global_load_dwordx2 v[0:1], v[10:11], off
	s_and_saveexec_b32 s10, s1
	s_cbranch_execz .LBB2_33
; %bb.30:
	v_mov_b32_e32 v8, 0
	s_clause 0x2
	global_load_dwordx2 v[2:3], v8, s[6:7] offset:40
	global_load_dwordx2 v[11:12], v8, s[6:7] offset:24 glc dlc
	global_load_dwordx2 v[4:5], v8, s[6:7]
	s_waitcnt vmcnt(2)
	v_readfirstlane_b32 s12, v2
	v_readfirstlane_b32 s13, v3
	s_add_u32 s1, s12, 1
	s_addc_u32 s11, s13, 0
	s_add_u32 s8, s1, s8
	s_addc_u32 s9, s11, s9
	s_cmp_eq_u64 s[8:9], 0
	s_cselect_b32 s9, s11, s9
	s_cselect_b32 s8, s1, s8
	v_mov_b32_e32 v10, s9
	s_and_b64 s[12:13], s[8:9], s[12:13]
	v_mov_b32_e32 v9, s8
	s_mul_i32 s1, s13, 24
	s_mul_hi_u32 s11, s12, 24
	s_mul_i32 s12, s12, 24
	s_add_i32 s11, s11, s1
	s_waitcnt vmcnt(0)
	v_add_co_u32 v6, vcc_lo, v4, s12
	v_add_co_ci_u32_e64 v7, null, s11, v5, vcc_lo
	global_store_dwordx2 v[6:7], v[11:12], off
	s_waitcnt_vscnt null, 0x0
	global_atomic_cmpswap_x2 v[4:5], v8, v[9:12], s[6:7] offset:24 glc
	s_waitcnt vmcnt(0)
	v_cmp_ne_u64_e32 vcc_lo, v[4:5], v[11:12]
	s_and_b32 exec_lo, exec_lo, vcc_lo
	s_cbranch_execz .LBB2_33
; %bb.31:
	s_mov_b32 s1, 0
.LBB2_32:                               ; =>This Inner Loop Header: Depth=1
	v_mov_b32_e32 v2, s8
	v_mov_b32_e32 v3, s9
	s_sleep 1
	global_store_dwordx2 v[6:7], v[4:5], off
	s_waitcnt_vscnt null, 0x0
	global_atomic_cmpswap_x2 v[2:3], v8, v[2:5], s[6:7] offset:24 glc
	s_waitcnt vmcnt(0)
	v_cmp_eq_u64_e32 vcc_lo, v[2:3], v[4:5]
	v_mov_b32_e32 v5, v3
	v_mov_b32_e32 v4, v2
	s_or_b32 s1, vcc_lo, s1
	s_andn2_b32 exec_lo, exec_lo, s1
	s_cbranch_execnz .LBB2_32
.LBB2_33:
	s_or_b32 exec_lo, exec_lo, s10
	s_getpc_b64 s[8:9]
	s_add_u32 s8, s8, .str.8@rel32@lo+4
	s_addc_u32 s9, s9, .str.8@rel32@hi+12
	s_cmp_lg_u64 s[8:9], 0
	s_cbranch_scc0 .LBB2_112
; %bb.34:
	s_waitcnt vmcnt(0)
	v_and_b32_e32 v32, 2, v0
	v_mov_b32_e32 v7, 0
	v_and_b32_e32 v2, -3, v0
	v_mov_b32_e32 v3, v1
	v_mov_b32_e32 v8, 2
	;; [unrolled: 1-line block ×3, first 2 shown]
	s_mov_b64 s[10:11], 0x4d
	s_branch .LBB2_36
.LBB2_35:                               ;   in Loop: Header=BB2_36 Depth=1
	s_or_b32 exec_lo, exec_lo, s16
	s_sub_u32 s10, s10, s12
	s_subb_u32 s11, s11, s13
	s_add_u32 s8, s8, s12
	s_addc_u32 s9, s9, s13
	s_cmp_lg_u64 s[10:11], 0
	s_cbranch_scc0 .LBB2_111
.LBB2_36:                               ; =>This Loop Header: Depth=1
                                        ;     Child Loop BB2_39 Depth 2
                                        ;     Child Loop BB2_46 Depth 2
	;; [unrolled: 1-line block ×11, first 2 shown]
	v_cmp_lt_u64_e64 s1, s[10:11], 56
	v_cmp_gt_u64_e64 s16, s[10:11], 7
	s_and_b32 s1, s1, exec_lo
	s_cselect_b32 s13, s11, 0
	s_cselect_b32 s12, s10, 56
	s_add_u32 s14, s8, 8
	s_addc_u32 s15, s9, 0
	s_and_b32 vcc_lo, exec_lo, s16
	s_cbranch_vccnz .LBB2_41
; %bb.37:                               ;   in Loop: Header=BB2_36 Depth=1
	v_mov_b32_e32 v4, 0
	v_mov_b32_e32 v5, 0
	s_cmp_eq_u64 s[10:11], 0
	s_cbranch_scc1 .LBB2_40
; %bb.38:                               ;   in Loop: Header=BB2_36 Depth=1
	s_lshl_b64 s[14:15], s[12:13], 3
	s_mov_b64 s[16:17], 0
	s_mov_b64 s[18:19], s[8:9]
.LBB2_39:                               ;   Parent Loop BB2_36 Depth=1
                                        ; =>  This Inner Loop Header: Depth=2
	global_load_ubyte v6, v7, s[18:19]
	s_waitcnt vmcnt(0)
	v_and_b32_e32 v6, 0xffff, v6
	v_lshlrev_b64 v[10:11], s16, v[6:7]
	s_add_u32 s16, s16, 8
	s_addc_u32 s17, s17, 0
	s_add_u32 s18, s18, 1
	s_addc_u32 s19, s19, 0
	s_cmp_lg_u32 s14, s16
	v_or_b32_e32 v4, v10, v4
	v_or_b32_e32 v5, v11, v5
	s_cbranch_scc1 .LBB2_39
.LBB2_40:                               ;   in Loop: Header=BB2_36 Depth=1
	s_mov_b64 s[14:15], s[8:9]
	s_mov_b32 s1, 0
	s_cbranch_execz .LBB2_42
	s_branch .LBB2_43
.LBB2_41:                               ;   in Loop: Header=BB2_36 Depth=1
	s_mov_b32 s1, 0
.LBB2_42:                               ;   in Loop: Header=BB2_36 Depth=1
	global_load_dwordx2 v[4:5], v7, s[8:9]
	s_add_i32 s1, s12, -8
.LBB2_43:                               ;   in Loop: Header=BB2_36 Depth=1
	s_add_u32 s16, s14, 8
	s_addc_u32 s17, s15, 0
	s_cmp_gt_u32 s1, 7
	s_cbranch_scc1 .LBB2_48
; %bb.44:                               ;   in Loop: Header=BB2_36 Depth=1
	v_mov_b32_e32 v10, 0
	v_mov_b32_e32 v11, 0
	s_cmp_eq_u32 s1, 0
	s_cbranch_scc1 .LBB2_47
; %bb.45:                               ;   in Loop: Header=BB2_36 Depth=1
	s_mov_b64 s[16:17], 0
	s_mov_b64 s[18:19], 0
.LBB2_46:                               ;   Parent Loop BB2_36 Depth=1
                                        ; =>  This Inner Loop Header: Depth=2
	s_add_u32 s24, s14, s18
	s_addc_u32 s25, s15, s19
	s_add_u32 s18, s18, 1
	global_load_ubyte v6, v7, s[24:25]
	s_addc_u32 s19, s19, 0
	s_waitcnt vmcnt(0)
	v_and_b32_e32 v6, 0xffff, v6
	v_lshlrev_b64 v[12:13], s16, v[6:7]
	s_add_u32 s16, s16, 8
	s_addc_u32 s17, s17, 0
	s_cmp_lg_u32 s1, s18
	v_or_b32_e32 v10, v12, v10
	v_or_b32_e32 v11, v13, v11
	s_cbranch_scc1 .LBB2_46
.LBB2_47:                               ;   in Loop: Header=BB2_36 Depth=1
	s_mov_b64 s[16:17], s[14:15]
	s_mov_b32 s24, 0
	s_cbranch_execz .LBB2_49
	s_branch .LBB2_50
.LBB2_48:                               ;   in Loop: Header=BB2_36 Depth=1
                                        ; implicit-def: $vgpr10_vgpr11
	s_mov_b32 s24, 0
.LBB2_49:                               ;   in Loop: Header=BB2_36 Depth=1
	global_load_dwordx2 v[10:11], v7, s[14:15]
	s_add_i32 s24, s1, -8
.LBB2_50:                               ;   in Loop: Header=BB2_36 Depth=1
	s_add_u32 s14, s16, 8
	s_addc_u32 s15, s17, 0
	s_cmp_gt_u32 s24, 7
	s_cbranch_scc1 .LBB2_55
; %bb.51:                               ;   in Loop: Header=BB2_36 Depth=1
	v_mov_b32_e32 v12, 0
	v_mov_b32_e32 v13, 0
	s_cmp_eq_u32 s24, 0
	s_cbranch_scc1 .LBB2_54
; %bb.52:                               ;   in Loop: Header=BB2_36 Depth=1
	s_mov_b64 s[14:15], 0
	s_mov_b64 s[18:19], 0
.LBB2_53:                               ;   Parent Loop BB2_36 Depth=1
                                        ; =>  This Inner Loop Header: Depth=2
	s_add_u32 s26, s16, s18
	s_addc_u32 s27, s17, s19
	s_add_u32 s18, s18, 1
	global_load_ubyte v6, v7, s[26:27]
	s_addc_u32 s19, s19, 0
	s_waitcnt vmcnt(0)
	v_and_b32_e32 v6, 0xffff, v6
	v_lshlrev_b64 v[14:15], s14, v[6:7]
	s_add_u32 s14, s14, 8
	s_addc_u32 s15, s15, 0
	s_cmp_lg_u32 s24, s18
	v_or_b32_e32 v12, v14, v12
	v_or_b32_e32 v13, v15, v13
	s_cbranch_scc1 .LBB2_53
.LBB2_54:                               ;   in Loop: Header=BB2_36 Depth=1
	s_mov_b64 s[14:15], s[16:17]
	s_mov_b32 s1, 0
	s_cbranch_execz .LBB2_56
	s_branch .LBB2_57
.LBB2_55:                               ;   in Loop: Header=BB2_36 Depth=1
	s_mov_b32 s1, 0
.LBB2_56:                               ;   in Loop: Header=BB2_36 Depth=1
	global_load_dwordx2 v[12:13], v7, s[16:17]
	s_add_i32 s1, s24, -8
.LBB2_57:                               ;   in Loop: Header=BB2_36 Depth=1
	s_add_u32 s16, s14, 8
	s_addc_u32 s17, s15, 0
	s_cmp_gt_u32 s1, 7
	s_cbranch_scc1 .LBB2_62
; %bb.58:                               ;   in Loop: Header=BB2_36 Depth=1
	v_mov_b32_e32 v14, 0
	v_mov_b32_e32 v15, 0
	s_cmp_eq_u32 s1, 0
	s_cbranch_scc1 .LBB2_61
; %bb.59:                               ;   in Loop: Header=BB2_36 Depth=1
	s_mov_b64 s[16:17], 0
	s_mov_b64 s[18:19], 0
.LBB2_60:                               ;   Parent Loop BB2_36 Depth=1
                                        ; =>  This Inner Loop Header: Depth=2
	s_add_u32 s24, s14, s18
	s_addc_u32 s25, s15, s19
	s_add_u32 s18, s18, 1
	global_load_ubyte v6, v7, s[24:25]
	s_addc_u32 s19, s19, 0
	s_waitcnt vmcnt(0)
	v_and_b32_e32 v6, 0xffff, v6
	v_lshlrev_b64 v[16:17], s16, v[6:7]
	s_add_u32 s16, s16, 8
	s_addc_u32 s17, s17, 0
	s_cmp_lg_u32 s1, s18
	v_or_b32_e32 v14, v16, v14
	v_or_b32_e32 v15, v17, v15
	s_cbranch_scc1 .LBB2_60
.LBB2_61:                               ;   in Loop: Header=BB2_36 Depth=1
	s_mov_b64 s[16:17], s[14:15]
	s_mov_b32 s24, 0
	s_cbranch_execz .LBB2_63
	s_branch .LBB2_64
.LBB2_62:                               ;   in Loop: Header=BB2_36 Depth=1
                                        ; implicit-def: $vgpr14_vgpr15
	s_mov_b32 s24, 0
.LBB2_63:                               ;   in Loop: Header=BB2_36 Depth=1
	global_load_dwordx2 v[14:15], v7, s[14:15]
	s_add_i32 s24, s1, -8
.LBB2_64:                               ;   in Loop: Header=BB2_36 Depth=1
	s_add_u32 s14, s16, 8
	s_addc_u32 s15, s17, 0
	s_cmp_gt_u32 s24, 7
	s_cbranch_scc1 .LBB2_69
; %bb.65:                               ;   in Loop: Header=BB2_36 Depth=1
	v_mov_b32_e32 v16, 0
	v_mov_b32_e32 v17, 0
	s_cmp_eq_u32 s24, 0
	s_cbranch_scc1 .LBB2_68
; %bb.66:                               ;   in Loop: Header=BB2_36 Depth=1
	s_mov_b64 s[14:15], 0
	s_mov_b64 s[18:19], 0
.LBB2_67:                               ;   Parent Loop BB2_36 Depth=1
                                        ; =>  This Inner Loop Header: Depth=2
	s_add_u32 s26, s16, s18
	s_addc_u32 s27, s17, s19
	s_add_u32 s18, s18, 1
	global_load_ubyte v6, v7, s[26:27]
	s_addc_u32 s19, s19, 0
	s_waitcnt vmcnt(0)
	v_and_b32_e32 v6, 0xffff, v6
	v_lshlrev_b64 v[18:19], s14, v[6:7]
	s_add_u32 s14, s14, 8
	s_addc_u32 s15, s15, 0
	s_cmp_lg_u32 s24, s18
	v_or_b32_e32 v16, v18, v16
	v_or_b32_e32 v17, v19, v17
	s_cbranch_scc1 .LBB2_67
.LBB2_68:                               ;   in Loop: Header=BB2_36 Depth=1
	s_mov_b64 s[14:15], s[16:17]
	s_mov_b32 s1, 0
	s_cbranch_execz .LBB2_70
	s_branch .LBB2_71
.LBB2_69:                               ;   in Loop: Header=BB2_36 Depth=1
	s_mov_b32 s1, 0
.LBB2_70:                               ;   in Loop: Header=BB2_36 Depth=1
	global_load_dwordx2 v[16:17], v7, s[16:17]
	s_add_i32 s1, s24, -8
.LBB2_71:                               ;   in Loop: Header=BB2_36 Depth=1
	s_add_u32 s16, s14, 8
	s_addc_u32 s17, s15, 0
	s_cmp_gt_u32 s1, 7
	s_cbranch_scc1 .LBB2_76
; %bb.72:                               ;   in Loop: Header=BB2_36 Depth=1
	v_mov_b32_e32 v18, 0
	v_mov_b32_e32 v19, 0
	s_cmp_eq_u32 s1, 0
	s_cbranch_scc1 .LBB2_75
; %bb.73:                               ;   in Loop: Header=BB2_36 Depth=1
	s_mov_b64 s[16:17], 0
	s_mov_b64 s[18:19], 0
.LBB2_74:                               ;   Parent Loop BB2_36 Depth=1
                                        ; =>  This Inner Loop Header: Depth=2
	s_add_u32 s24, s14, s18
	s_addc_u32 s25, s15, s19
	s_add_u32 s18, s18, 1
	global_load_ubyte v6, v7, s[24:25]
	s_addc_u32 s19, s19, 0
	s_waitcnt vmcnt(0)
	v_and_b32_e32 v6, 0xffff, v6
	v_lshlrev_b64 v[20:21], s16, v[6:7]
	s_add_u32 s16, s16, 8
	s_addc_u32 s17, s17, 0
	s_cmp_lg_u32 s1, s18
	v_or_b32_e32 v18, v20, v18
	v_or_b32_e32 v19, v21, v19
	s_cbranch_scc1 .LBB2_74
.LBB2_75:                               ;   in Loop: Header=BB2_36 Depth=1
	s_mov_b64 s[16:17], s[14:15]
	s_mov_b32 s24, 0
	s_cbranch_execz .LBB2_77
	s_branch .LBB2_78
.LBB2_76:                               ;   in Loop: Header=BB2_36 Depth=1
                                        ; implicit-def: $vgpr18_vgpr19
	s_mov_b32 s24, 0
.LBB2_77:                               ;   in Loop: Header=BB2_36 Depth=1
	global_load_dwordx2 v[18:19], v7, s[14:15]
	s_add_i32 s24, s1, -8
.LBB2_78:                               ;   in Loop: Header=BB2_36 Depth=1
	s_cmp_gt_u32 s24, 7
	s_cbranch_scc1 .LBB2_83
; %bb.79:                               ;   in Loop: Header=BB2_36 Depth=1
	v_mov_b32_e32 v20, 0
	v_mov_b32_e32 v21, 0
	s_cmp_eq_u32 s24, 0
	s_cbranch_scc1 .LBB2_82
; %bb.80:                               ;   in Loop: Header=BB2_36 Depth=1
	s_mov_b64 s[14:15], 0
	s_mov_b64 s[18:19], s[16:17]
.LBB2_81:                               ;   Parent Loop BB2_36 Depth=1
                                        ; =>  This Inner Loop Header: Depth=2
	global_load_ubyte v6, v7, s[18:19]
	s_add_i32 s24, s24, -1
	s_waitcnt vmcnt(0)
	v_and_b32_e32 v6, 0xffff, v6
	v_lshlrev_b64 v[22:23], s14, v[6:7]
	s_add_u32 s14, s14, 8
	s_addc_u32 s15, s15, 0
	s_add_u32 s18, s18, 1
	s_addc_u32 s19, s19, 0
	s_cmp_lg_u32 s24, 0
	v_or_b32_e32 v20, v22, v20
	v_or_b32_e32 v21, v23, v21
	s_cbranch_scc1 .LBB2_81
.LBB2_82:                               ;   in Loop: Header=BB2_36 Depth=1
	s_cbranch_execz .LBB2_84
	s_branch .LBB2_85
.LBB2_83:                               ;   in Loop: Header=BB2_36 Depth=1
.LBB2_84:                               ;   in Loop: Header=BB2_36 Depth=1
	global_load_dwordx2 v[20:21], v7, s[16:17]
.LBB2_85:                               ;   in Loop: Header=BB2_36 Depth=1
	v_readfirstlane_b32 s1, v30
	v_mov_b32_e32 v26, 0
	v_mov_b32_e32 v27, 0
	v_cmp_eq_u32_e64 s1, s1, v30
	s_and_saveexec_b32 s14, s1
	s_cbranch_execz .LBB2_91
; %bb.86:                               ;   in Loop: Header=BB2_36 Depth=1
	global_load_dwordx2 v[24:25], v7, s[6:7] offset:24 glc dlc
	s_waitcnt vmcnt(0)
	buffer_gl1_inv
	buffer_gl0_inv
	s_clause 0x1
	global_load_dwordx2 v[22:23], v7, s[6:7] offset:40
	global_load_dwordx2 v[26:27], v7, s[6:7]
	s_mov_b32 s15, exec_lo
	s_waitcnt vmcnt(1)
	v_and_b32_e32 v6, v23, v25
	v_and_b32_e32 v22, v22, v24
	v_mul_lo_u32 v6, v6, 24
	v_mul_hi_u32 v23, v22, 24
	v_mul_lo_u32 v22, v22, 24
	v_add_nc_u32_e32 v6, v23, v6
	s_waitcnt vmcnt(0)
	v_add_co_u32 v22, vcc_lo, v26, v22
	v_add_co_ci_u32_e64 v23, null, v27, v6, vcc_lo
	global_load_dwordx2 v[22:23], v[22:23], off glc dlc
	s_waitcnt vmcnt(0)
	global_atomic_cmpswap_x2 v[26:27], v7, v[22:25], s[6:7] offset:24 glc
	s_waitcnt vmcnt(0)
	buffer_gl1_inv
	buffer_gl0_inv
	v_cmpx_ne_u64_e64 v[26:27], v[24:25]
	s_cbranch_execz .LBB2_90
; %bb.87:                               ;   in Loop: Header=BB2_36 Depth=1
	s_mov_b32 s16, 0
	.p2align	6
.LBB2_88:                               ;   Parent Loop BB2_36 Depth=1
                                        ; =>  This Inner Loop Header: Depth=2
	s_sleep 1
	s_clause 0x1
	global_load_dwordx2 v[22:23], v7, s[6:7] offset:40
	global_load_dwordx2 v[33:34], v7, s[6:7]
	v_mov_b32_e32 v24, v26
	v_mov_b32_e32 v25, v27
	s_waitcnt vmcnt(1)
	v_and_b32_e32 v6, v22, v24
	v_and_b32_e32 v22, v23, v25
	s_waitcnt vmcnt(0)
	v_mad_u64_u32 v[26:27], null, v6, 24, v[33:34]
	v_mov_b32_e32 v6, v27
	v_mad_u64_u32 v[22:23], null, v22, 24, v[6:7]
	v_mov_b32_e32 v27, v22
	global_load_dwordx2 v[22:23], v[26:27], off glc dlc
	s_waitcnt vmcnt(0)
	global_atomic_cmpswap_x2 v[26:27], v7, v[22:25], s[6:7] offset:24 glc
	s_waitcnt vmcnt(0)
	buffer_gl1_inv
	buffer_gl0_inv
	v_cmp_eq_u64_e32 vcc_lo, v[26:27], v[24:25]
	s_or_b32 s16, vcc_lo, s16
	s_andn2_b32 exec_lo, exec_lo, s16
	s_cbranch_execnz .LBB2_88
; %bb.89:                               ;   in Loop: Header=BB2_36 Depth=1
	s_or_b32 exec_lo, exec_lo, s16
.LBB2_90:                               ;   in Loop: Header=BB2_36 Depth=1
	s_or_b32 exec_lo, exec_lo, s15
.LBB2_91:                               ;   in Loop: Header=BB2_36 Depth=1
	s_or_b32 exec_lo, exec_lo, s14
	s_clause 0x1
	global_load_dwordx2 v[33:34], v7, s[6:7] offset:40
	global_load_dwordx4 v[22:25], v7, s[6:7]
	v_readfirstlane_b32 s15, v27
	v_readfirstlane_b32 s14, v26
	s_mov_b32 s18, exec_lo
	s_waitcnt vmcnt(1)
	v_readfirstlane_b32 s16, v33
	v_readfirstlane_b32 s17, v34
	s_and_b64 s[16:17], s[16:17], s[14:15]
	s_mul_i32 s19, s17, 24
	s_mul_hi_u32 s24, s16, 24
	s_mul_i32 s25, s16, 24
	s_add_i32 s24, s24, s19
	s_waitcnt vmcnt(0)
	v_add_co_u32 v26, vcc_lo, v22, s25
	v_add_co_ci_u32_e64 v27, null, s24, v23, vcc_lo
	s_and_saveexec_b32 s19, s1
	s_cbranch_execz .LBB2_93
; %bb.92:                               ;   in Loop: Header=BB2_36 Depth=1
	v_mov_b32_e32 v6, s18
	global_store_dwordx4 v[26:27], v[6:9], off offset:8
.LBB2_93:                               ;   in Loop: Header=BB2_36 Depth=1
	s_or_b32 exec_lo, exec_lo, s19
	v_cmp_lt_u64_e64 vcc_lo, s[10:11], 57
	s_lshl_b64 s[16:17], s[16:17], 12
	v_and_b32_e32 v2, 0xffffff1f, v2
	v_cndmask_b32_e32 v6, 0, v32, vcc_lo
	v_add_co_u32 v24, vcc_lo, v24, s16
	v_add_co_ci_u32_e64 v25, null, s17, v25, vcc_lo
	v_or_b32_e32 v2, v2, v6
	s_lshl_b32 s16, s12, 2
	s_add_i32 s18, s16, 28
	v_readfirstlane_b32 s16, v24
	v_readfirstlane_b32 s17, v25
	v_and_or_b32 v2, 0x1e0, s18, v2
	global_store_dwordx4 v28, v[10:13], s[16:17] offset:16
	global_store_dwordx4 v28, v[2:5], s[16:17]
	global_store_dwordx4 v28, v[14:17], s[16:17] offset:32
	global_store_dwordx4 v28, v[18:21], s[16:17] offset:48
	s_and_saveexec_b32 s16, s1
	s_cbranch_execz .LBB2_101
; %bb.94:                               ;   in Loop: Header=BB2_36 Depth=1
	s_clause 0x1
	global_load_dwordx2 v[14:15], v7, s[6:7] offset:32 glc dlc
	global_load_dwordx2 v[2:3], v7, s[6:7] offset:40
	v_mov_b32_e32 v12, s14
	v_mov_b32_e32 v13, s15
	s_waitcnt vmcnt(0)
	v_readfirstlane_b32 s18, v2
	v_readfirstlane_b32 s19, v3
	s_and_b64 s[18:19], s[18:19], s[14:15]
	s_mul_i32 s17, s19, 24
	s_mul_hi_u32 s19, s18, 24
	s_mul_i32 s18, s18, 24
	s_add_i32 s19, s19, s17
	v_add_co_u32 v10, vcc_lo, v22, s18
	v_add_co_ci_u32_e64 v11, null, s19, v23, vcc_lo
	s_mov_b32 s17, exec_lo
	global_store_dwordx2 v[10:11], v[14:15], off
	s_waitcnt_vscnt null, 0x0
	global_atomic_cmpswap_x2 v[4:5], v7, v[12:15], s[6:7] offset:32 glc
	s_waitcnt vmcnt(0)
	v_cmpx_ne_u64_e64 v[4:5], v[14:15]
	s_cbranch_execz .LBB2_97
; %bb.95:                               ;   in Loop: Header=BB2_36 Depth=1
	s_mov_b32 s18, 0
.LBB2_96:                               ;   Parent Loop BB2_36 Depth=1
                                        ; =>  This Inner Loop Header: Depth=2
	v_mov_b32_e32 v2, s14
	v_mov_b32_e32 v3, s15
	s_sleep 1
	global_store_dwordx2 v[10:11], v[4:5], off
	s_waitcnt_vscnt null, 0x0
	global_atomic_cmpswap_x2 v[2:3], v7, v[2:5], s[6:7] offset:32 glc
	s_waitcnt vmcnt(0)
	v_cmp_eq_u64_e32 vcc_lo, v[2:3], v[4:5]
	v_mov_b32_e32 v5, v3
	v_mov_b32_e32 v4, v2
	s_or_b32 s18, vcc_lo, s18
	s_andn2_b32 exec_lo, exec_lo, s18
	s_cbranch_execnz .LBB2_96
.LBB2_97:                               ;   in Loop: Header=BB2_36 Depth=1
	s_or_b32 exec_lo, exec_lo, s17
	global_load_dwordx2 v[2:3], v7, s[6:7] offset:16
	s_mov_b32 s18, exec_lo
	s_mov_b32 s17, exec_lo
	v_mbcnt_lo_u32_b32 v4, s18, 0
	v_cmpx_eq_u32_e32 0, v4
	s_cbranch_execz .LBB2_99
; %bb.98:                               ;   in Loop: Header=BB2_36 Depth=1
	s_bcnt1_i32_b32 s18, s18
	v_mov_b32_e32 v6, s18
	s_waitcnt vmcnt(0)
	global_atomic_add_x2 v[2:3], v[6:7], off offset:8
.LBB2_99:                               ;   in Loop: Header=BB2_36 Depth=1
	s_or_b32 exec_lo, exec_lo, s17
	s_waitcnt vmcnt(0)
	global_load_dwordx2 v[4:5], v[2:3], off offset:16
	s_waitcnt vmcnt(0)
	v_cmp_eq_u64_e32 vcc_lo, 0, v[4:5]
	s_cbranch_vccnz .LBB2_101
; %bb.100:                              ;   in Loop: Header=BB2_36 Depth=1
	global_load_dword v6, v[2:3], off offset:24
	s_waitcnt vmcnt(0)
	v_readfirstlane_b32 s17, v6
	s_waitcnt_vscnt null, 0x0
	global_store_dwordx2 v[4:5], v[6:7], off
	s_and_b32 m0, s17, 0x7fffff
	s_sendmsg sendmsg(MSG_INTERRUPT)
.LBB2_101:                              ;   in Loop: Header=BB2_36 Depth=1
	s_or_b32 exec_lo, exec_lo, s16
	v_add_co_u32 v2, vcc_lo, v24, v28
	v_add_co_ci_u32_e64 v3, null, 0, v25, vcc_lo
	s_branch .LBB2_105
	.p2align	6
.LBB2_102:                              ;   in Loop: Header=BB2_105 Depth=2
	s_or_b32 exec_lo, exec_lo, s16
	v_readfirstlane_b32 s16, v4
	s_cmp_eq_u32 s16, 0
	s_cbranch_scc1 .LBB2_104
; %bb.103:                              ;   in Loop: Header=BB2_105 Depth=2
	s_sleep 1
	s_cbranch_execnz .LBB2_105
	s_branch .LBB2_107
	.p2align	6
.LBB2_104:                              ;   in Loop: Header=BB2_36 Depth=1
	s_branch .LBB2_107
.LBB2_105:                              ;   Parent Loop BB2_36 Depth=1
                                        ; =>  This Inner Loop Header: Depth=2
	v_mov_b32_e32 v4, 1
	s_and_saveexec_b32 s16, s1
	s_cbranch_execz .LBB2_102
; %bb.106:                              ;   in Loop: Header=BB2_105 Depth=2
	global_load_dword v4, v[26:27], off offset:20 glc dlc
	s_waitcnt vmcnt(0)
	buffer_gl1_inv
	buffer_gl0_inv
	v_and_b32_e32 v4, 1, v4
	s_branch .LBB2_102
.LBB2_107:                              ;   in Loop: Header=BB2_36 Depth=1
	global_load_dwordx2 v[2:3], v[2:3], off
	s_and_saveexec_b32 s16, s1
	s_cbranch_execz .LBB2_35
; %bb.108:                              ;   in Loop: Header=BB2_36 Depth=1
	s_clause 0x2
	global_load_dwordx2 v[4:5], v7, s[6:7] offset:40
	global_load_dwordx2 v[14:15], v7, s[6:7] offset:24 glc dlc
	global_load_dwordx2 v[10:11], v7, s[6:7]
	s_waitcnt vmcnt(2)
	v_readfirstlane_b32 s18, v4
	v_readfirstlane_b32 s19, v5
	s_add_u32 s1, s18, 1
	s_addc_u32 s17, s19, 0
	s_add_u32 s14, s1, s14
	s_addc_u32 s15, s17, s15
	s_cmp_eq_u64 s[14:15], 0
	s_cselect_b32 s15, s17, s15
	s_cselect_b32 s14, s1, s14
	v_mov_b32_e32 v13, s15
	s_and_b64 s[18:19], s[14:15], s[18:19]
	v_mov_b32_e32 v12, s14
	s_mul_i32 s1, s19, 24
	s_mul_hi_u32 s17, s18, 24
	s_mul_i32 s18, s18, 24
	s_add_i32 s17, s17, s1
	s_waitcnt vmcnt(0)
	v_add_co_u32 v4, vcc_lo, v10, s18
	v_add_co_ci_u32_e64 v5, null, s17, v11, vcc_lo
	global_store_dwordx2 v[4:5], v[14:15], off
	s_waitcnt_vscnt null, 0x0
	global_atomic_cmpswap_x2 v[12:13], v7, v[12:15], s[6:7] offset:24 glc
	s_waitcnt vmcnt(0)
	v_cmp_ne_u64_e32 vcc_lo, v[12:13], v[14:15]
	s_and_b32 exec_lo, exec_lo, vcc_lo
	s_cbranch_execz .LBB2_35
; %bb.109:                              ;   in Loop: Header=BB2_36 Depth=1
	s_mov_b32 s1, 0
.LBB2_110:                              ;   Parent Loop BB2_36 Depth=1
                                        ; =>  This Inner Loop Header: Depth=2
	v_mov_b32_e32 v10, s14
	v_mov_b32_e32 v11, s15
	s_sleep 1
	global_store_dwordx2 v[4:5], v[12:13], off
	s_waitcnt_vscnt null, 0x0
	global_atomic_cmpswap_x2 v[10:11], v7, v[10:13], s[6:7] offset:24 glc
	s_waitcnt vmcnt(0)
	v_cmp_eq_u64_e32 vcc_lo, v[10:11], v[12:13]
	v_mov_b32_e32 v13, v11
	v_mov_b32_e32 v12, v10
	s_or_b32 s1, vcc_lo, s1
	s_andn2_b32 exec_lo, exec_lo, s1
	s_cbranch_execnz .LBB2_110
	s_branch .LBB2_35
.LBB2_111:
	s_branch .LBB2_140
.LBB2_112:
                                        ; implicit-def: $vgpr2_vgpr3
	s_cbranch_execz .LBB2_140
; %bb.113:
	v_readfirstlane_b32 s1, v30
	v_mov_b32_e32 v8, 0
	v_mov_b32_e32 v9, 0
	v_cmp_eq_u32_e64 s1, s1, v30
	s_and_saveexec_b32 s8, s1
	s_cbranch_execz .LBB2_119
; %bb.114:
	s_waitcnt vmcnt(0)
	v_mov_b32_e32 v2, 0
	s_mov_b32 s9, exec_lo
	global_load_dwordx2 v[5:6], v2, s[6:7] offset:24 glc dlc
	s_waitcnt vmcnt(0)
	buffer_gl1_inv
	buffer_gl0_inv
	s_clause 0x1
	global_load_dwordx2 v[3:4], v2, s[6:7] offset:40
	global_load_dwordx2 v[7:8], v2, s[6:7]
	s_waitcnt vmcnt(1)
	v_and_b32_e32 v4, v4, v6
	v_and_b32_e32 v3, v3, v5
	v_mul_lo_u32 v4, v4, 24
	v_mul_hi_u32 v9, v3, 24
	v_mul_lo_u32 v3, v3, 24
	v_add_nc_u32_e32 v4, v9, v4
	s_waitcnt vmcnt(0)
	v_add_co_u32 v3, vcc_lo, v7, v3
	v_add_co_ci_u32_e64 v4, null, v8, v4, vcc_lo
	global_load_dwordx2 v[3:4], v[3:4], off glc dlc
	s_waitcnt vmcnt(0)
	global_atomic_cmpswap_x2 v[8:9], v2, v[3:6], s[6:7] offset:24 glc
	s_waitcnt vmcnt(0)
	buffer_gl1_inv
	buffer_gl0_inv
	v_cmpx_ne_u64_e64 v[8:9], v[5:6]
	s_cbranch_execz .LBB2_118
; %bb.115:
	s_mov_b32 s10, 0
	.p2align	6
.LBB2_116:                              ; =>This Inner Loop Header: Depth=1
	s_sleep 1
	s_clause 0x1
	global_load_dwordx2 v[3:4], v2, s[6:7] offset:40
	global_load_dwordx2 v[10:11], v2, s[6:7]
	v_mov_b32_e32 v5, v8
	v_mov_b32_e32 v6, v9
	s_waitcnt vmcnt(1)
	v_and_b32_e32 v3, v3, v5
	v_and_b32_e32 v4, v4, v6
	s_waitcnt vmcnt(0)
	v_mad_u64_u32 v[7:8], null, v3, 24, v[10:11]
	v_mov_b32_e32 v3, v8
	v_mad_u64_u32 v[3:4], null, v4, 24, v[3:4]
	v_mov_b32_e32 v8, v3
	global_load_dwordx2 v[3:4], v[7:8], off glc dlc
	s_waitcnt vmcnt(0)
	global_atomic_cmpswap_x2 v[8:9], v2, v[3:6], s[6:7] offset:24 glc
	s_waitcnt vmcnt(0)
	buffer_gl1_inv
	buffer_gl0_inv
	v_cmp_eq_u64_e32 vcc_lo, v[8:9], v[5:6]
	s_or_b32 s10, vcc_lo, s10
	s_andn2_b32 exec_lo, exec_lo, s10
	s_cbranch_execnz .LBB2_116
; %bb.117:
	s_or_b32 exec_lo, exec_lo, s10
.LBB2_118:
	s_or_b32 exec_lo, exec_lo, s9
.LBB2_119:
	s_or_b32 exec_lo, exec_lo, s8
	s_waitcnt vmcnt(0)
	v_mov_b32_e32 v2, 0
	v_readfirstlane_b32 s9, v9
	v_readfirstlane_b32 s8, v8
	s_mov_b32 s12, exec_lo
	s_clause 0x1
	global_load_dwordx2 v[10:11], v2, s[6:7] offset:40
	global_load_dwordx4 v[4:7], v2, s[6:7]
	s_waitcnt vmcnt(1)
	v_readfirstlane_b32 s10, v10
	v_readfirstlane_b32 s11, v11
	s_and_b64 s[10:11], s[10:11], s[8:9]
	s_mul_i32 s13, s11, 24
	s_mul_hi_u32 s14, s10, 24
	s_mul_i32 s15, s10, 24
	s_add_i32 s14, s14, s13
	s_waitcnt vmcnt(0)
	v_add_co_u32 v8, vcc_lo, v4, s15
	v_add_co_ci_u32_e64 v9, null, s14, v5, vcc_lo
	s_and_saveexec_b32 s13, s1
	s_cbranch_execz .LBB2_121
; %bb.120:
	v_mov_b32_e32 v10, s12
	v_mov_b32_e32 v11, v2
	;; [unrolled: 1-line block ×4, first 2 shown]
	global_store_dwordx4 v[8:9], v[10:13], off offset:8
.LBB2_121:
	s_or_b32 exec_lo, exec_lo, s13
	s_lshl_b64 s[10:11], s[10:11], 12
	s_mov_b32 s12, 0
	v_add_co_u32 v6, vcc_lo, v6, s10
	v_add_co_ci_u32_e64 v7, null, s11, v7, vcc_lo
	s_mov_b32 s13, s12
	v_readfirstlane_b32 s10, v6
	v_add_co_u32 v6, vcc_lo, v6, v28
	s_mov_b32 s14, s12
	s_mov_b32 s15, s12
	v_and_or_b32 v0, 0xffffff1f, v0, 32
	v_mov_b32_e32 v3, v2
	v_readfirstlane_b32 s11, v7
	v_mov_b32_e32 v10, s12
	v_add_co_ci_u32_e64 v7, null, 0, v7, vcc_lo
	v_mov_b32_e32 v11, s13
	v_mov_b32_e32 v12, s14
	;; [unrolled: 1-line block ×3, first 2 shown]
	global_store_dwordx4 v28, v[0:3], s[10:11]
	global_store_dwordx4 v28, v[10:13], s[10:11] offset:16
	global_store_dwordx4 v28, v[10:13], s[10:11] offset:32
	;; [unrolled: 1-line block ×3, first 2 shown]
	s_and_saveexec_b32 s10, s1
	s_cbranch_execz .LBB2_129
; %bb.122:
	v_mov_b32_e32 v10, 0
	v_mov_b32_e32 v11, s8
	;; [unrolled: 1-line block ×3, first 2 shown]
	s_clause 0x1
	global_load_dwordx2 v[13:14], v10, s[6:7] offset:32 glc dlc
	global_load_dwordx2 v[0:1], v10, s[6:7] offset:40
	s_waitcnt vmcnt(0)
	v_readfirstlane_b32 s12, v0
	v_readfirstlane_b32 s13, v1
	s_and_b64 s[12:13], s[12:13], s[8:9]
	s_mul_i32 s11, s13, 24
	s_mul_hi_u32 s13, s12, 24
	s_mul_i32 s12, s12, 24
	s_add_i32 s13, s13, s11
	v_add_co_u32 v4, vcc_lo, v4, s12
	v_add_co_ci_u32_e64 v5, null, s13, v5, vcc_lo
	s_mov_b32 s11, exec_lo
	global_store_dwordx2 v[4:5], v[13:14], off
	s_waitcnt_vscnt null, 0x0
	global_atomic_cmpswap_x2 v[2:3], v10, v[11:14], s[6:7] offset:32 glc
	s_waitcnt vmcnt(0)
	v_cmpx_ne_u64_e64 v[2:3], v[13:14]
	s_cbranch_execz .LBB2_125
; %bb.123:
	s_mov_b32 s12, 0
.LBB2_124:                              ; =>This Inner Loop Header: Depth=1
	v_mov_b32_e32 v0, s8
	v_mov_b32_e32 v1, s9
	s_sleep 1
	global_store_dwordx2 v[4:5], v[2:3], off
	s_waitcnt_vscnt null, 0x0
	global_atomic_cmpswap_x2 v[0:1], v10, v[0:3], s[6:7] offset:32 glc
	s_waitcnt vmcnt(0)
	v_cmp_eq_u64_e32 vcc_lo, v[0:1], v[2:3]
	v_mov_b32_e32 v3, v1
	v_mov_b32_e32 v2, v0
	s_or_b32 s12, vcc_lo, s12
	s_andn2_b32 exec_lo, exec_lo, s12
	s_cbranch_execnz .LBB2_124
.LBB2_125:
	s_or_b32 exec_lo, exec_lo, s11
	v_mov_b32_e32 v3, 0
	s_mov_b32 s12, exec_lo
	s_mov_b32 s11, exec_lo
	v_mbcnt_lo_u32_b32 v2, s12, 0
	global_load_dwordx2 v[0:1], v3, s[6:7] offset:16
	v_cmpx_eq_u32_e32 0, v2
	s_cbranch_execz .LBB2_127
; %bb.126:
	s_bcnt1_i32_b32 s12, s12
	v_mov_b32_e32 v2, s12
	s_waitcnt vmcnt(0)
	global_atomic_add_x2 v[0:1], v[2:3], off offset:8
.LBB2_127:
	s_or_b32 exec_lo, exec_lo, s11
	s_waitcnt vmcnt(0)
	global_load_dwordx2 v[2:3], v[0:1], off offset:16
	s_waitcnt vmcnt(0)
	v_cmp_eq_u64_e32 vcc_lo, 0, v[2:3]
	s_cbranch_vccnz .LBB2_129
; %bb.128:
	global_load_dword v0, v[0:1], off offset:24
	v_mov_b32_e32 v1, 0
	s_waitcnt vmcnt(0)
	v_readfirstlane_b32 s11, v0
	s_waitcnt_vscnt null, 0x0
	global_store_dwordx2 v[2:3], v[0:1], off
	s_and_b32 m0, s11, 0x7fffff
	s_sendmsg sendmsg(MSG_INTERRUPT)
.LBB2_129:
	s_or_b32 exec_lo, exec_lo, s10
	s_branch .LBB2_133
	.p2align	6
.LBB2_130:                              ;   in Loop: Header=BB2_133 Depth=1
	s_or_b32 exec_lo, exec_lo, s10
	v_readfirstlane_b32 s10, v0
	s_cmp_eq_u32 s10, 0
	s_cbranch_scc1 .LBB2_132
; %bb.131:                              ;   in Loop: Header=BB2_133 Depth=1
	s_sleep 1
	s_cbranch_execnz .LBB2_133
	s_branch .LBB2_135
	.p2align	6
.LBB2_132:
	s_branch .LBB2_135
.LBB2_133:                              ; =>This Inner Loop Header: Depth=1
	v_mov_b32_e32 v0, 1
	s_and_saveexec_b32 s10, s1
	s_cbranch_execz .LBB2_130
; %bb.134:                              ;   in Loop: Header=BB2_133 Depth=1
	global_load_dword v0, v[8:9], off offset:20 glc dlc
	s_waitcnt vmcnt(0)
	buffer_gl1_inv
	buffer_gl0_inv
	v_and_b32_e32 v0, 1, v0
	s_branch .LBB2_130
.LBB2_135:
	global_load_dwordx2 v[2:3], v[6:7], off
	s_and_saveexec_b32 s10, s1
	s_cbranch_execz .LBB2_139
; %bb.136:
	v_mov_b32_e32 v8, 0
	s_clause 0x2
	global_load_dwordx2 v[0:1], v8, s[6:7] offset:40
	global_load_dwordx2 v[11:12], v8, s[6:7] offset:24 glc dlc
	global_load_dwordx2 v[4:5], v8, s[6:7]
	s_waitcnt vmcnt(2)
	v_readfirstlane_b32 s12, v0
	v_readfirstlane_b32 s13, v1
	s_add_u32 s1, s12, 1
	s_addc_u32 s11, s13, 0
	s_add_u32 s8, s1, s8
	s_addc_u32 s9, s11, s9
	s_cmp_eq_u64 s[8:9], 0
	s_cselect_b32 s9, s11, s9
	s_cselect_b32 s8, s1, s8
	v_mov_b32_e32 v10, s9
	s_and_b64 s[12:13], s[8:9], s[12:13]
	v_mov_b32_e32 v9, s8
	s_mul_i32 s1, s13, 24
	s_mul_hi_u32 s11, s12, 24
	s_mul_i32 s12, s12, 24
	s_add_i32 s11, s11, s1
	s_waitcnt vmcnt(0)
	v_add_co_u32 v0, vcc_lo, v4, s12
	v_add_co_ci_u32_e64 v1, null, s11, v5, vcc_lo
	global_store_dwordx2 v[0:1], v[11:12], off
	s_waitcnt_vscnt null, 0x0
	global_atomic_cmpswap_x2 v[6:7], v8, v[9:12], s[6:7] offset:24 glc
	s_waitcnt vmcnt(0)
	v_cmp_ne_u64_e32 vcc_lo, v[6:7], v[11:12]
	s_and_b32 exec_lo, exec_lo, vcc_lo
	s_cbranch_execz .LBB2_139
; %bb.137:
	s_mov_b32 s1, 0
.LBB2_138:                              ; =>This Inner Loop Header: Depth=1
	v_mov_b32_e32 v4, s8
	v_mov_b32_e32 v5, s9
	s_sleep 1
	global_store_dwordx2 v[0:1], v[6:7], off
	s_waitcnt_vscnt null, 0x0
	global_atomic_cmpswap_x2 v[4:5], v8, v[4:7], s[6:7] offset:24 glc
	s_waitcnt vmcnt(0)
	v_cmp_eq_u64_e32 vcc_lo, v[4:5], v[6:7]
	v_mov_b32_e32 v7, v5
	v_mov_b32_e32 v6, v4
	s_or_b32 s1, vcc_lo, s1
	s_andn2_b32 exec_lo, exec_lo, s1
	s_cbranch_execnz .LBB2_138
.LBB2_139:
	s_or_b32 exec_lo, exec_lo, s10
.LBB2_140:
	v_readfirstlane_b32 s1, v30
	s_waitcnt vmcnt(0)
	v_mov_b32_e32 v0, 0
	v_mov_b32_e32 v1, 0
	v_cmp_eq_u32_e64 s1, s1, v30
	s_and_saveexec_b32 s8, s1
	s_cbranch_execz .LBB2_146
; %bb.141:
	v_mov_b32_e32 v4, 0
	s_mov_b32 s9, exec_lo
	global_load_dwordx2 v[7:8], v4, s[6:7] offset:24 glc dlc
	s_waitcnt vmcnt(0)
	buffer_gl1_inv
	buffer_gl0_inv
	s_clause 0x1
	global_load_dwordx2 v[0:1], v4, s[6:7] offset:40
	global_load_dwordx2 v[5:6], v4, s[6:7]
	s_waitcnt vmcnt(1)
	v_and_b32_e32 v1, v1, v8
	v_and_b32_e32 v0, v0, v7
	v_mul_lo_u32 v1, v1, 24
	v_mul_hi_u32 v9, v0, 24
	v_mul_lo_u32 v0, v0, 24
	v_add_nc_u32_e32 v1, v9, v1
	s_waitcnt vmcnt(0)
	v_add_co_u32 v0, vcc_lo, v5, v0
	v_add_co_ci_u32_e64 v1, null, v6, v1, vcc_lo
	global_load_dwordx2 v[5:6], v[0:1], off glc dlc
	s_waitcnt vmcnt(0)
	global_atomic_cmpswap_x2 v[0:1], v4, v[5:8], s[6:7] offset:24 glc
	s_waitcnt vmcnt(0)
	buffer_gl1_inv
	buffer_gl0_inv
	v_cmpx_ne_u64_e64 v[0:1], v[7:8]
	s_cbranch_execz .LBB2_145
; %bb.142:
	s_mov_b32 s10, 0
	.p2align	6
.LBB2_143:                              ; =>This Inner Loop Header: Depth=1
	s_sleep 1
	s_clause 0x1
	global_load_dwordx2 v[5:6], v4, s[6:7] offset:40
	global_load_dwordx2 v[9:10], v4, s[6:7]
	v_mov_b32_e32 v8, v1
	v_mov_b32_e32 v7, v0
	s_waitcnt vmcnt(1)
	v_and_b32_e32 v0, v5, v7
	v_and_b32_e32 v5, v6, v8
	s_waitcnt vmcnt(0)
	v_mad_u64_u32 v[0:1], null, v0, 24, v[9:10]
	v_mad_u64_u32 v[5:6], null, v5, 24, v[1:2]
	v_mov_b32_e32 v1, v5
	global_load_dwordx2 v[5:6], v[0:1], off glc dlc
	s_waitcnt vmcnt(0)
	global_atomic_cmpswap_x2 v[0:1], v4, v[5:8], s[6:7] offset:24 glc
	s_waitcnt vmcnt(0)
	buffer_gl1_inv
	buffer_gl0_inv
	v_cmp_eq_u64_e32 vcc_lo, v[0:1], v[7:8]
	s_or_b32 s10, vcc_lo, s10
	s_andn2_b32 exec_lo, exec_lo, s10
	s_cbranch_execnz .LBB2_143
; %bb.144:
	s_or_b32 exec_lo, exec_lo, s10
.LBB2_145:
	s_or_b32 exec_lo, exec_lo, s9
.LBB2_146:
	s_or_b32 exec_lo, exec_lo, s8
	v_mov_b32_e32 v5, 0
	v_readfirstlane_b32 s9, v1
	v_readfirstlane_b32 s8, v0
	s_mov_b32 s12, exec_lo
	s_clause 0x1
	global_load_dwordx2 v[10:11], v5, s[6:7] offset:40
	global_load_dwordx4 v[6:9], v5, s[6:7]
	s_waitcnt vmcnt(1)
	v_readfirstlane_b32 s10, v10
	v_readfirstlane_b32 s11, v11
	s_and_b64 s[10:11], s[10:11], s[8:9]
	s_mul_i32 s13, s11, 24
	s_mul_hi_u32 s14, s10, 24
	s_mul_i32 s15, s10, 24
	s_add_i32 s14, s14, s13
	s_waitcnt vmcnt(0)
	v_add_co_u32 v10, vcc_lo, v6, s15
	v_add_co_ci_u32_e64 v11, null, s14, v7, vcc_lo
	s_and_saveexec_b32 s13, s1
	s_cbranch_execz .LBB2_148
; %bb.147:
	v_mov_b32_e32 v4, s12
	v_mov_b32_e32 v13, v5
	;; [unrolled: 1-line block ×5, first 2 shown]
	global_store_dwordx4 v[10:11], v[12:15], off offset:8
.LBB2_148:
	s_or_b32 exec_lo, exec_lo, s13
	s_lshl_b64 s[10:11], s[10:11], 12
	s_mov_b32 s16, 0
	v_add_co_u32 v0, vcc_lo, v8, s10
	v_add_co_ci_u32_e64 v1, null, s11, v9, vcc_lo
	s_add_i32 s12, s20, -1
	v_add_co_u32 v8, vcc_lo, v0, v28
	s_mov_b32 s17, s16
	s_mov_b32 s18, s16
	;; [unrolled: 1-line block ×3, first 2 shown]
	v_and_or_b32 v2, 0xffffff1f, v2, 32
	v_mov_b32_e32 v4, s12
	v_readfirstlane_b32 s10, v0
	v_readfirstlane_b32 s11, v1
	v_mov_b32_e32 v12, s16
	v_add_co_ci_u32_e64 v9, null, 0, v1, vcc_lo
	v_mov_b32_e32 v13, s17
	v_mov_b32_e32 v14, s18
	;; [unrolled: 1-line block ×3, first 2 shown]
	global_store_dwordx4 v28, v[2:5], s[10:11]
	global_store_dwordx4 v28, v[12:15], s[10:11] offset:16
	global_store_dwordx4 v28, v[12:15], s[10:11] offset:32
	;; [unrolled: 1-line block ×3, first 2 shown]
	s_and_saveexec_b32 s10, s1
	s_cbranch_execz .LBB2_156
; %bb.149:
	v_mov_b32_e32 v12, 0
	v_mov_b32_e32 v13, s8
	v_mov_b32_e32 v14, s9
	s_clause 0x1
	global_load_dwordx2 v[15:16], v12, s[6:7] offset:32 glc dlc
	global_load_dwordx2 v[0:1], v12, s[6:7] offset:40
	s_waitcnt vmcnt(0)
	v_readfirstlane_b32 s14, v0
	v_readfirstlane_b32 s15, v1
	s_and_b64 s[14:15], s[14:15], s[8:9]
	s_mul_i32 s11, s15, 24
	s_mul_hi_u32 s13, s14, 24
	s_mul_i32 s14, s14, 24
	s_add_i32 s13, s13, s11
	v_add_co_u32 v4, vcc_lo, v6, s14
	v_add_co_ci_u32_e64 v5, null, s13, v7, vcc_lo
	s_mov_b32 s11, exec_lo
	global_store_dwordx2 v[4:5], v[15:16], off
	s_waitcnt_vscnt null, 0x0
	global_atomic_cmpswap_x2 v[2:3], v12, v[13:16], s[6:7] offset:32 glc
	s_waitcnt vmcnt(0)
	v_cmpx_ne_u64_e64 v[2:3], v[15:16]
	s_cbranch_execz .LBB2_152
; %bb.150:
	s_mov_b32 s13, 0
.LBB2_151:                              ; =>This Inner Loop Header: Depth=1
	v_mov_b32_e32 v0, s8
	v_mov_b32_e32 v1, s9
	s_sleep 1
	global_store_dwordx2 v[4:5], v[2:3], off
	s_waitcnt_vscnt null, 0x0
	global_atomic_cmpswap_x2 v[0:1], v12, v[0:3], s[6:7] offset:32 glc
	s_waitcnt vmcnt(0)
	v_cmp_eq_u64_e32 vcc_lo, v[0:1], v[2:3]
	v_mov_b32_e32 v3, v1
	v_mov_b32_e32 v2, v0
	s_or_b32 s13, vcc_lo, s13
	s_andn2_b32 exec_lo, exec_lo, s13
	s_cbranch_execnz .LBB2_151
.LBB2_152:
	s_or_b32 exec_lo, exec_lo, s11
	v_mov_b32_e32 v3, 0
	s_mov_b32 s13, exec_lo
	s_mov_b32 s11, exec_lo
	v_mbcnt_lo_u32_b32 v2, s13, 0
	global_load_dwordx2 v[0:1], v3, s[6:7] offset:16
	v_cmpx_eq_u32_e32 0, v2
	s_cbranch_execz .LBB2_154
; %bb.153:
	s_bcnt1_i32_b32 s13, s13
	v_mov_b32_e32 v2, s13
	s_waitcnt vmcnt(0)
	global_atomic_add_x2 v[0:1], v[2:3], off offset:8
.LBB2_154:
	s_or_b32 exec_lo, exec_lo, s11
	s_waitcnt vmcnt(0)
	global_load_dwordx2 v[2:3], v[0:1], off offset:16
	s_waitcnt vmcnt(0)
	v_cmp_eq_u64_e32 vcc_lo, 0, v[2:3]
	s_cbranch_vccnz .LBB2_156
; %bb.155:
	global_load_dword v0, v[0:1], off offset:24
	v_mov_b32_e32 v1, 0
	s_waitcnt vmcnt(0)
	v_readfirstlane_b32 s11, v0
	s_waitcnt_vscnt null, 0x0
	global_store_dwordx2 v[2:3], v[0:1], off
	s_and_b32 m0, s11, 0x7fffff
	s_sendmsg sendmsg(MSG_INTERRUPT)
.LBB2_156:
	s_or_b32 exec_lo, exec_lo, s10
	s_branch .LBB2_160
	.p2align	6
.LBB2_157:                              ;   in Loop: Header=BB2_160 Depth=1
	s_or_b32 exec_lo, exec_lo, s10
	v_readfirstlane_b32 s10, v0
	s_cmp_eq_u32 s10, 0
	s_cbranch_scc1 .LBB2_159
; %bb.158:                              ;   in Loop: Header=BB2_160 Depth=1
	s_sleep 1
	s_cbranch_execnz .LBB2_160
	s_branch .LBB2_162
	.p2align	6
.LBB2_159:
	s_branch .LBB2_162
.LBB2_160:                              ; =>This Inner Loop Header: Depth=1
	v_mov_b32_e32 v0, 1
	s_and_saveexec_b32 s10, s1
	s_cbranch_execz .LBB2_157
; %bb.161:                              ;   in Loop: Header=BB2_160 Depth=1
	global_load_dword v0, v[10:11], off offset:20 glc dlc
	s_waitcnt vmcnt(0)
	buffer_gl1_inv
	buffer_gl0_inv
	v_and_b32_e32 v0, 1, v0
	s_branch .LBB2_157
.LBB2_162:
	global_load_dwordx2 v[0:1], v[8:9], off
	s_and_saveexec_b32 s10, s1
	s_cbranch_execz .LBB2_166
; %bb.163:
	v_mov_b32_e32 v8, 0
	s_clause 0x2
	global_load_dwordx2 v[2:3], v8, s[6:7] offset:40
	global_load_dwordx2 v[11:12], v8, s[6:7] offset:24 glc dlc
	global_load_dwordx2 v[4:5], v8, s[6:7]
	s_waitcnt vmcnt(2)
	v_readfirstlane_b32 s14, v2
	v_readfirstlane_b32 s15, v3
	s_add_u32 s1, s14, 1
	s_addc_u32 s11, s15, 0
	s_add_u32 s8, s1, s8
	s_addc_u32 s9, s11, s9
	s_cmp_eq_u64 s[8:9], 0
	s_cselect_b32 s9, s11, s9
	s_cselect_b32 s8, s1, s8
	v_mov_b32_e32 v10, s9
	s_and_b64 s[14:15], s[8:9], s[14:15]
	v_mov_b32_e32 v9, s8
	s_mul_i32 s1, s15, 24
	s_mul_hi_u32 s11, s14, 24
	s_mul_i32 s13, s14, 24
	s_add_i32 s11, s11, s1
	s_waitcnt vmcnt(0)
	v_add_co_u32 v6, vcc_lo, v4, s13
	v_add_co_ci_u32_e64 v7, null, s11, v5, vcc_lo
	global_store_dwordx2 v[6:7], v[11:12], off
	s_waitcnt_vscnt null, 0x0
	global_atomic_cmpswap_x2 v[4:5], v8, v[9:12], s[6:7] offset:24 glc
	s_waitcnt vmcnt(0)
	v_cmp_ne_u64_e32 vcc_lo, v[4:5], v[11:12]
	s_and_b32 exec_lo, exec_lo, vcc_lo
	s_cbranch_execz .LBB2_166
; %bb.164:
	s_mov_b32 s1, 0
.LBB2_165:                              ; =>This Inner Loop Header: Depth=1
	v_mov_b32_e32 v2, s8
	v_mov_b32_e32 v3, s9
	s_sleep 1
	global_store_dwordx2 v[6:7], v[4:5], off
	s_waitcnt_vscnt null, 0x0
	global_atomic_cmpswap_x2 v[2:3], v8, v[2:5], s[6:7] offset:24 glc
	s_waitcnt vmcnt(0)
	v_cmp_eq_u64_e32 vcc_lo, v[2:3], v[4:5]
	v_mov_b32_e32 v5, v3
	v_mov_b32_e32 v4, v2
	s_or_b32 s1, vcc_lo, s1
	s_andn2_b32 exec_lo, exec_lo, s1
	s_cbranch_execnz .LBB2_165
.LBB2_166:
	s_or_b32 exec_lo, exec_lo, s10
	v_readfirstlane_b32 s1, v30
	v_mov_b32_e32 v8, 0
	v_mov_b32_e32 v9, 0
	v_cmp_eq_u32_e64 s1, s1, v30
	s_and_saveexec_b32 s8, s1
	s_cbranch_execz .LBB2_172
; %bb.167:
	v_mov_b32_e32 v2, 0
	s_mov_b32 s9, exec_lo
	global_load_dwordx2 v[5:6], v2, s[6:7] offset:24 glc dlc
	s_waitcnt vmcnt(0)
	buffer_gl1_inv
	buffer_gl0_inv
	s_clause 0x1
	global_load_dwordx2 v[3:4], v2, s[6:7] offset:40
	global_load_dwordx2 v[7:8], v2, s[6:7]
	s_waitcnt vmcnt(1)
	v_and_b32_e32 v4, v4, v6
	v_and_b32_e32 v3, v3, v5
	v_mul_lo_u32 v4, v4, 24
	v_mul_hi_u32 v9, v3, 24
	v_mul_lo_u32 v3, v3, 24
	v_add_nc_u32_e32 v4, v9, v4
	s_waitcnt vmcnt(0)
	v_add_co_u32 v3, vcc_lo, v7, v3
	v_add_co_ci_u32_e64 v4, null, v8, v4, vcc_lo
	global_load_dwordx2 v[3:4], v[3:4], off glc dlc
	s_waitcnt vmcnt(0)
	global_atomic_cmpswap_x2 v[8:9], v2, v[3:6], s[6:7] offset:24 glc
	s_waitcnt vmcnt(0)
	buffer_gl1_inv
	buffer_gl0_inv
	v_cmpx_ne_u64_e64 v[8:9], v[5:6]
	s_cbranch_execz .LBB2_171
; %bb.168:
	s_mov_b32 s10, 0
	.p2align	6
.LBB2_169:                              ; =>This Inner Loop Header: Depth=1
	s_sleep 1
	s_clause 0x1
	global_load_dwordx2 v[3:4], v2, s[6:7] offset:40
	global_load_dwordx2 v[10:11], v2, s[6:7]
	v_mov_b32_e32 v5, v8
	v_mov_b32_e32 v6, v9
	s_waitcnt vmcnt(1)
	v_and_b32_e32 v3, v3, v5
	v_and_b32_e32 v4, v4, v6
	s_waitcnt vmcnt(0)
	v_mad_u64_u32 v[7:8], null, v3, 24, v[10:11]
	v_mov_b32_e32 v3, v8
	v_mad_u64_u32 v[3:4], null, v4, 24, v[3:4]
	v_mov_b32_e32 v8, v3
	global_load_dwordx2 v[3:4], v[7:8], off glc dlc
	s_waitcnt vmcnt(0)
	global_atomic_cmpswap_x2 v[8:9], v2, v[3:6], s[6:7] offset:24 glc
	s_waitcnt vmcnt(0)
	buffer_gl1_inv
	buffer_gl0_inv
	v_cmp_eq_u64_e32 vcc_lo, v[8:9], v[5:6]
	s_or_b32 s10, vcc_lo, s10
	s_andn2_b32 exec_lo, exec_lo, s10
	s_cbranch_execnz .LBB2_169
; %bb.170:
	s_or_b32 exec_lo, exec_lo, s10
.LBB2_171:
	s_or_b32 exec_lo, exec_lo, s9
.LBB2_172:
	s_or_b32 exec_lo, exec_lo, s8
	v_mov_b32_e32 v3, 0
	v_readfirstlane_b32 s9, v9
	v_readfirstlane_b32 s8, v8
	s_mov_b32 s13, exec_lo
	s_clause 0x1
	global_load_dwordx2 v[10:11], v3, s[6:7] offset:40
	global_load_dwordx4 v[4:7], v3, s[6:7]
	s_waitcnt vmcnt(1)
	v_readfirstlane_b32 s10, v10
	v_readfirstlane_b32 s11, v11
	s_and_b64 s[10:11], s[10:11], s[8:9]
	s_mul_i32 s14, s11, 24
	s_mul_hi_u32 s15, s10, 24
	s_mul_i32 s16, s10, 24
	s_add_i32 s15, s15, s14
	s_waitcnt vmcnt(0)
	v_add_co_u32 v8, vcc_lo, v4, s16
	v_add_co_ci_u32_e64 v9, null, s15, v5, vcc_lo
	s_and_saveexec_b32 s14, s1
	s_cbranch_execz .LBB2_174
; %bb.173:
	v_mov_b32_e32 v2, s13
	v_mov_b32_e32 v11, v3
	;; [unrolled: 1-line block ×5, first 2 shown]
	global_store_dwordx4 v[8:9], v[10:13], off offset:8
.LBB2_174:
	s_or_b32 exec_lo, exec_lo, s14
	s_lshl_b64 s[10:11], s[10:11], 12
	s_mov_b32 s16, 0
	v_add_co_u32 v6, vcc_lo, v6, s10
	v_add_co_ci_u32_e64 v7, null, s11, v7, vcc_lo
	s_mov_b32 s17, s16
	v_readfirstlane_b32 s10, v6
	v_add_co_u32 v6, vcc_lo, v6, v28
	s_mov_b32 s18, s16
	s_mov_b32 s19, s16
	v_cndmask_b32_e64 v2, -1, v31, s0
	v_and_or_b32 v0, 0xffffff1f, v0, 32
	v_readfirstlane_b32 s11, v7
	v_mov_b32_e32 v10, s16
	v_add_co_ci_u32_e64 v7, null, 0, v7, vcc_lo
	v_mov_b32_e32 v11, s17
	v_mov_b32_e32 v12, s18
	;; [unrolled: 1-line block ×3, first 2 shown]
	global_store_dwordx4 v28, v[0:3], s[10:11]
	global_store_dwordx4 v28, v[10:13], s[10:11] offset:16
	global_store_dwordx4 v28, v[10:13], s[10:11] offset:32
	;; [unrolled: 1-line block ×3, first 2 shown]
	s_and_saveexec_b32 s0, s1
	s_cbranch_execz .LBB2_182
; %bb.175:
	v_mov_b32_e32 v10, 0
	v_mov_b32_e32 v11, s8
	;; [unrolled: 1-line block ×3, first 2 shown]
	s_clause 0x1
	global_load_dwordx2 v[13:14], v10, s[6:7] offset:32 glc dlc
	global_load_dwordx2 v[0:1], v10, s[6:7] offset:40
	s_waitcnt vmcnt(0)
	v_readfirstlane_b32 s10, v0
	v_readfirstlane_b32 s11, v1
	s_and_b64 s[10:11], s[10:11], s[8:9]
	s_mul_i32 s11, s11, 24
	s_mul_hi_u32 s13, s10, 24
	s_mul_i32 s10, s10, 24
	s_add_i32 s13, s13, s11
	v_add_co_u32 v4, vcc_lo, v4, s10
	v_add_co_ci_u32_e64 v5, null, s13, v5, vcc_lo
	s_mov_b32 s10, exec_lo
	global_store_dwordx2 v[4:5], v[13:14], off
	s_waitcnt_vscnt null, 0x0
	global_atomic_cmpswap_x2 v[2:3], v10, v[11:14], s[6:7] offset:32 glc
	s_waitcnt vmcnt(0)
	v_cmpx_ne_u64_e64 v[2:3], v[13:14]
	s_cbranch_execz .LBB2_178
; %bb.176:
	s_mov_b32 s11, 0
.LBB2_177:                              ; =>This Inner Loop Header: Depth=1
	v_mov_b32_e32 v0, s8
	v_mov_b32_e32 v1, s9
	s_sleep 1
	global_store_dwordx2 v[4:5], v[2:3], off
	s_waitcnt_vscnt null, 0x0
	global_atomic_cmpswap_x2 v[0:1], v10, v[0:3], s[6:7] offset:32 glc
	s_waitcnt vmcnt(0)
	v_cmp_eq_u64_e32 vcc_lo, v[0:1], v[2:3]
	v_mov_b32_e32 v3, v1
	v_mov_b32_e32 v2, v0
	s_or_b32 s11, vcc_lo, s11
	s_andn2_b32 exec_lo, exec_lo, s11
	s_cbranch_execnz .LBB2_177
.LBB2_178:
	s_or_b32 exec_lo, exec_lo, s10
	v_mov_b32_e32 v3, 0
	s_mov_b32 s11, exec_lo
	s_mov_b32 s10, exec_lo
	v_mbcnt_lo_u32_b32 v2, s11, 0
	global_load_dwordx2 v[0:1], v3, s[6:7] offset:16
	v_cmpx_eq_u32_e32 0, v2
	s_cbranch_execz .LBB2_180
; %bb.179:
	s_bcnt1_i32_b32 s11, s11
	v_mov_b32_e32 v2, s11
	s_waitcnt vmcnt(0)
	global_atomic_add_x2 v[0:1], v[2:3], off offset:8
.LBB2_180:
	s_or_b32 exec_lo, exec_lo, s10
	s_waitcnt vmcnt(0)
	global_load_dwordx2 v[2:3], v[0:1], off offset:16
	s_waitcnt vmcnt(0)
	v_cmp_eq_u64_e32 vcc_lo, 0, v[2:3]
	s_cbranch_vccnz .LBB2_182
; %bb.181:
	global_load_dword v0, v[0:1], off offset:24
	v_mov_b32_e32 v1, 0
	s_waitcnt vmcnt(0)
	v_readfirstlane_b32 s10, v0
	s_waitcnt_vscnt null, 0x0
	global_store_dwordx2 v[2:3], v[0:1], off
	s_and_b32 m0, s10, 0x7fffff
	s_sendmsg sendmsg(MSG_INTERRUPT)
.LBB2_182:
	s_or_b32 exec_lo, exec_lo, s0
	s_branch .LBB2_186
	.p2align	6
.LBB2_183:                              ;   in Loop: Header=BB2_186 Depth=1
	s_or_b32 exec_lo, exec_lo, s0
	v_readfirstlane_b32 s0, v0
	s_cmp_eq_u32 s0, 0
	s_cbranch_scc1 .LBB2_185
; %bb.184:                              ;   in Loop: Header=BB2_186 Depth=1
	s_sleep 1
	s_cbranch_execnz .LBB2_186
	s_branch .LBB2_188
	.p2align	6
.LBB2_185:
	s_branch .LBB2_188
.LBB2_186:                              ; =>This Inner Loop Header: Depth=1
	v_mov_b32_e32 v0, 1
	s_and_saveexec_b32 s0, s1
	s_cbranch_execz .LBB2_183
; %bb.187:                              ;   in Loop: Header=BB2_186 Depth=1
	global_load_dword v0, v[8:9], off offset:20 glc dlc
	s_waitcnt vmcnt(0)
	buffer_gl1_inv
	buffer_gl0_inv
	v_and_b32_e32 v0, 1, v0
	s_branch .LBB2_183
.LBB2_188:
	global_load_dwordx2 v[0:1], v[6:7], off
	s_and_saveexec_b32 s10, s1
	s_cbranch_execz .LBB2_192
; %bb.189:
	v_mov_b32_e32 v8, 0
	s_clause 0x2
	global_load_dwordx2 v[2:3], v8, s[6:7] offset:40
	global_load_dwordx2 v[11:12], v8, s[6:7] offset:24 glc dlc
	global_load_dwordx2 v[4:5], v8, s[6:7]
	s_waitcnt vmcnt(2)
	v_readfirstlane_b32 s14, v2
	v_readfirstlane_b32 s15, v3
	s_add_u32 s11, s14, 1
	s_addc_u32 s13, s15, 0
	s_add_u32 s0, s11, s8
	s_addc_u32 s1, s13, s9
	s_cmp_eq_u64 s[0:1], 0
	s_cselect_b32 s1, s13, s1
	s_cselect_b32 s0, s11, s0
	v_mov_b32_e32 v10, s1
	s_and_b64 s[8:9], s[0:1], s[14:15]
	v_mov_b32_e32 v9, s0
	s_mul_i32 s9, s9, 24
	s_mul_hi_u32 s11, s8, 24
	s_mul_i32 s8, s8, 24
	s_add_i32 s11, s11, s9
	s_waitcnt vmcnt(0)
	v_add_co_u32 v6, vcc_lo, v4, s8
	v_add_co_ci_u32_e64 v7, null, s11, v5, vcc_lo
	global_store_dwordx2 v[6:7], v[11:12], off
	s_waitcnt_vscnt null, 0x0
	global_atomic_cmpswap_x2 v[4:5], v8, v[9:12], s[6:7] offset:24 glc
	s_waitcnt vmcnt(0)
	v_cmp_ne_u64_e32 vcc_lo, v[4:5], v[11:12]
	s_and_b32 exec_lo, exec_lo, vcc_lo
	s_cbranch_execz .LBB2_192
; %bb.190:
	s_mov_b32 s8, 0
.LBB2_191:                              ; =>This Inner Loop Header: Depth=1
	v_mov_b32_e32 v2, s0
	v_mov_b32_e32 v3, s1
	s_sleep 1
	global_store_dwordx2 v[6:7], v[4:5], off
	s_waitcnt_vscnt null, 0x0
	global_atomic_cmpswap_x2 v[2:3], v8, v[2:5], s[6:7] offset:24 glc
	s_waitcnt vmcnt(0)
	v_cmp_eq_u64_e32 vcc_lo, v[2:3], v[4:5]
	v_mov_b32_e32 v5, v3
	v_mov_b32_e32 v4, v2
	s_or_b32 s8, vcc_lo, s8
	s_andn2_b32 exec_lo, exec_lo, s8
	s_cbranch_execnz .LBB2_191
.LBB2_192:
	s_or_b32 exec_lo, exec_lo, s10
	v_readfirstlane_b32 s0, v30
	v_mov_b32_e32 v8, 0
	v_mov_b32_e32 v9, 0
	v_cmp_eq_u32_e64 s0, s0, v30
	s_and_saveexec_b32 s1, s0
	s_cbranch_execz .LBB2_198
; %bb.193:
	v_mov_b32_e32 v2, 0
	s_mov_b32 s8, exec_lo
	global_load_dwordx2 v[5:6], v2, s[6:7] offset:24 glc dlc
	s_waitcnt vmcnt(0)
	buffer_gl1_inv
	buffer_gl0_inv
	s_clause 0x1
	global_load_dwordx2 v[3:4], v2, s[6:7] offset:40
	global_load_dwordx2 v[7:8], v2, s[6:7]
	s_waitcnt vmcnt(1)
	v_and_b32_e32 v4, v4, v6
	v_and_b32_e32 v3, v3, v5
	v_mul_lo_u32 v4, v4, 24
	v_mul_hi_u32 v9, v3, 24
	v_mul_lo_u32 v3, v3, 24
	v_add_nc_u32_e32 v4, v9, v4
	s_waitcnt vmcnt(0)
	v_add_co_u32 v3, vcc_lo, v7, v3
	v_add_co_ci_u32_e64 v4, null, v8, v4, vcc_lo
	global_load_dwordx2 v[3:4], v[3:4], off glc dlc
	s_waitcnt vmcnt(0)
	global_atomic_cmpswap_x2 v[8:9], v2, v[3:6], s[6:7] offset:24 glc
	s_waitcnt vmcnt(0)
	buffer_gl1_inv
	buffer_gl0_inv
	v_cmpx_ne_u64_e64 v[8:9], v[5:6]
	s_cbranch_execz .LBB2_197
; %bb.194:
	s_mov_b32 s9, 0
	.p2align	6
.LBB2_195:                              ; =>This Inner Loop Header: Depth=1
	s_sleep 1
	s_clause 0x1
	global_load_dwordx2 v[3:4], v2, s[6:7] offset:40
	global_load_dwordx2 v[10:11], v2, s[6:7]
	v_mov_b32_e32 v5, v8
	v_mov_b32_e32 v6, v9
	s_waitcnt vmcnt(1)
	v_and_b32_e32 v3, v3, v5
	v_and_b32_e32 v4, v4, v6
	s_waitcnt vmcnt(0)
	v_mad_u64_u32 v[7:8], null, v3, 24, v[10:11]
	v_mov_b32_e32 v3, v8
	v_mad_u64_u32 v[3:4], null, v4, 24, v[3:4]
	v_mov_b32_e32 v8, v3
	global_load_dwordx2 v[3:4], v[7:8], off glc dlc
	s_waitcnt vmcnt(0)
	global_atomic_cmpswap_x2 v[8:9], v2, v[3:6], s[6:7] offset:24 glc
	s_waitcnt vmcnt(0)
	buffer_gl1_inv
	buffer_gl0_inv
	v_cmp_eq_u64_e32 vcc_lo, v[8:9], v[5:6]
	s_or_b32 s9, vcc_lo, s9
	s_andn2_b32 exec_lo, exec_lo, s9
	s_cbranch_execnz .LBB2_195
; %bb.196:
	s_or_b32 exec_lo, exec_lo, s9
.LBB2_197:
	s_or_b32 exec_lo, exec_lo, s8
.LBB2_198:
	s_or_b32 exec_lo, exec_lo, s1
	v_mov_b32_e32 v3, 0
	v_readfirstlane_b32 s9, v9
	v_readfirstlane_b32 s8, v8
	s_mov_b32 s1, exec_lo
	s_clause 0x1
	global_load_dwordx2 v[10:11], v3, s[6:7] offset:40
	global_load_dwordx4 v[4:7], v3, s[6:7]
	s_waitcnt vmcnt(1)
	v_readfirstlane_b32 s10, v10
	v_readfirstlane_b32 s11, v11
	s_and_b64 s[10:11], s[10:11], s[8:9]
	s_mul_i32 s13, s11, 24
	s_mul_hi_u32 s14, s10, 24
	s_mul_i32 s15, s10, 24
	s_add_i32 s14, s14, s13
	s_waitcnt vmcnt(0)
	v_add_co_u32 v8, vcc_lo, v4, s15
	v_add_co_ci_u32_e64 v9, null, s14, v5, vcc_lo
	s_and_saveexec_b32 s13, s0
	s_cbranch_execz .LBB2_200
; %bb.199:
	v_mov_b32_e32 v2, s1
	v_mov_b32_e32 v11, v3
	;; [unrolled: 1-line block ×5, first 2 shown]
	global_store_dwordx4 v[8:9], v[10:13], off offset:8
.LBB2_200:
	s_or_b32 exec_lo, exec_lo, s13
	s_lshl_b64 s[10:11], s[10:11], 12
	s_mul_i32 s12, s12, s20
	v_add_co_u32 v6, vcc_lo, v6, s10
	v_add_co_ci_u32_e64 v7, null, s11, v7, vcc_lo
	s_lshr_b32 s1, s12, 1
	s_mov_b32 s12, 0
	v_and_or_b32 v0, 0xffffff1d, v0, 34
	s_mov_b32 s13, s12
	s_mov_b32 s14, s12
	;; [unrolled: 1-line block ×3, first 2 shown]
	v_mov_b32_e32 v2, s1
	v_readfirstlane_b32 s10, v6
	v_readfirstlane_b32 s11, v7
	v_mov_b32_e32 v10, s12
	v_mov_b32_e32 v11, s13
	;; [unrolled: 1-line block ×4, first 2 shown]
	global_store_dwordx4 v28, v[0:3], s[10:11]
	global_store_dwordx4 v28, v[10:13], s[10:11] offset:16
	global_store_dwordx4 v28, v[10:13], s[10:11] offset:32
	global_store_dwordx4 v28, v[10:13], s[10:11] offset:48
	s_and_saveexec_b32 s1, s0
	s_cbranch_execz .LBB2_208
; %bb.201:
	v_mov_b32_e32 v6, 0
	v_mov_b32_e32 v10, s8
	;; [unrolled: 1-line block ×3, first 2 shown]
	s_clause 0x1
	global_load_dwordx2 v[12:13], v6, s[6:7] offset:32 glc dlc
	global_load_dwordx2 v[0:1], v6, s[6:7] offset:40
	s_waitcnt vmcnt(0)
	v_readfirstlane_b32 s10, v0
	v_readfirstlane_b32 s11, v1
	s_and_b64 s[10:11], s[10:11], s[8:9]
	s_mul_i32 s11, s11, 24
	s_mul_hi_u32 s12, s10, 24
	s_mul_i32 s10, s10, 24
	s_add_i32 s12, s12, s11
	v_add_co_u32 v4, vcc_lo, v4, s10
	v_add_co_ci_u32_e64 v5, null, s12, v5, vcc_lo
	s_mov_b32 s10, exec_lo
	global_store_dwordx2 v[4:5], v[12:13], off
	s_waitcnt_vscnt null, 0x0
	global_atomic_cmpswap_x2 v[2:3], v6, v[10:13], s[6:7] offset:32 glc
	s_waitcnt vmcnt(0)
	v_cmpx_ne_u64_e64 v[2:3], v[12:13]
	s_cbranch_execz .LBB2_204
; %bb.202:
	s_mov_b32 s11, 0
.LBB2_203:                              ; =>This Inner Loop Header: Depth=1
	v_mov_b32_e32 v0, s8
	v_mov_b32_e32 v1, s9
	s_sleep 1
	global_store_dwordx2 v[4:5], v[2:3], off
	s_waitcnt_vscnt null, 0x0
	global_atomic_cmpswap_x2 v[0:1], v6, v[0:3], s[6:7] offset:32 glc
	s_waitcnt vmcnt(0)
	v_cmp_eq_u64_e32 vcc_lo, v[0:1], v[2:3]
	v_mov_b32_e32 v3, v1
	v_mov_b32_e32 v2, v0
	s_or_b32 s11, vcc_lo, s11
	s_andn2_b32 exec_lo, exec_lo, s11
	s_cbranch_execnz .LBB2_203
.LBB2_204:
	s_or_b32 exec_lo, exec_lo, s10
	v_mov_b32_e32 v3, 0
	s_mov_b32 s11, exec_lo
	s_mov_b32 s10, exec_lo
	v_mbcnt_lo_u32_b32 v2, s11, 0
	global_load_dwordx2 v[0:1], v3, s[6:7] offset:16
	v_cmpx_eq_u32_e32 0, v2
	s_cbranch_execz .LBB2_206
; %bb.205:
	s_bcnt1_i32_b32 s11, s11
	v_mov_b32_e32 v2, s11
	s_waitcnt vmcnt(0)
	global_atomic_add_x2 v[0:1], v[2:3], off offset:8
.LBB2_206:
	s_or_b32 exec_lo, exec_lo, s10
	s_waitcnt vmcnt(0)
	global_load_dwordx2 v[2:3], v[0:1], off offset:16
	s_waitcnt vmcnt(0)
	v_cmp_eq_u64_e32 vcc_lo, 0, v[2:3]
	s_cbranch_vccnz .LBB2_208
; %bb.207:
	global_load_dword v0, v[0:1], off offset:24
	v_mov_b32_e32 v1, 0
	s_waitcnt vmcnt(0)
	v_readfirstlane_b32 s10, v0
	s_waitcnt_vscnt null, 0x0
	global_store_dwordx2 v[2:3], v[0:1], off
	s_and_b32 m0, s10, 0x7fffff
	s_sendmsg sendmsg(MSG_INTERRUPT)
.LBB2_208:
	s_or_b32 exec_lo, exec_lo, s1
	s_branch .LBB2_212
	.p2align	6
.LBB2_209:                              ;   in Loop: Header=BB2_212 Depth=1
	s_or_b32 exec_lo, exec_lo, s1
	v_readfirstlane_b32 s1, v0
	s_cmp_eq_u32 s1, 0
	s_cbranch_scc1 .LBB2_211
; %bb.210:                              ;   in Loop: Header=BB2_212 Depth=1
	s_sleep 1
	s_cbranch_execnz .LBB2_212
	s_branch .LBB2_214
	.p2align	6
.LBB2_211:
	s_branch .LBB2_214
.LBB2_212:                              ; =>This Inner Loop Header: Depth=1
	v_mov_b32_e32 v0, 1
	s_and_saveexec_b32 s1, s0
	s_cbranch_execz .LBB2_209
; %bb.213:                              ;   in Loop: Header=BB2_212 Depth=1
	global_load_dword v0, v[8:9], off offset:20 glc dlc
	s_waitcnt vmcnt(0)
	buffer_gl1_inv
	buffer_gl0_inv
	v_and_b32_e32 v0, 1, v0
	s_branch .LBB2_209
.LBB2_214:
	s_and_saveexec_b32 s10, s0
	s_cbranch_execz .LBB2_218
; %bb.215:
	v_mov_b32_e32 v6, 0
	s_clause 0x2
	global_load_dwordx2 v[0:1], v6, s[6:7] offset:40
	global_load_dwordx2 v[9:10], v6, s[6:7] offset:24 glc dlc
	global_load_dwordx2 v[2:3], v6, s[6:7]
	s_waitcnt vmcnt(2)
	v_readfirstlane_b32 s12, v0
	v_readfirstlane_b32 s13, v1
	s_add_u32 s11, s12, 1
	s_addc_u32 s14, s13, 0
	s_add_u32 s0, s11, s8
	s_addc_u32 s1, s14, s9
	s_cmp_eq_u64 s[0:1], 0
	s_cselect_b32 s1, s14, s1
	s_cselect_b32 s0, s11, s0
	v_mov_b32_e32 v8, s1
	s_and_b64 s[8:9], s[0:1], s[12:13]
	v_mov_b32_e32 v7, s0
	s_mul_i32 s9, s9, 24
	s_mul_hi_u32 s11, s8, 24
	s_mul_i32 s8, s8, 24
	s_add_i32 s11, s11, s9
	s_waitcnt vmcnt(0)
	v_add_co_u32 v4, vcc_lo, v2, s8
	v_add_co_ci_u32_e64 v5, null, s11, v3, vcc_lo
	global_store_dwordx2 v[4:5], v[9:10], off
	s_waitcnt_vscnt null, 0x0
	global_atomic_cmpswap_x2 v[2:3], v6, v[7:10], s[6:7] offset:24 glc
	s_waitcnt vmcnt(0)
	v_cmp_ne_u64_e32 vcc_lo, v[2:3], v[9:10]
	s_and_b32 exec_lo, exec_lo, vcc_lo
	s_cbranch_execz .LBB2_218
; %bb.216:
	s_mov_b32 s8, 0
.LBB2_217:                              ; =>This Inner Loop Header: Depth=1
	v_mov_b32_e32 v0, s0
	v_mov_b32_e32 v1, s1
	s_sleep 1
	global_store_dwordx2 v[4:5], v[2:3], off
	s_waitcnt_vscnt null, 0x0
	global_atomic_cmpswap_x2 v[0:1], v6, v[0:3], s[6:7] offset:24 glc
	s_waitcnt vmcnt(0)
	v_cmp_eq_u64_e32 vcc_lo, v[0:1], v[2:3]
	v_mov_b32_e32 v3, v1
	v_mov_b32_e32 v2, v0
	s_or_b32 s8, vcc_lo, s8
	s_andn2_b32 exec_lo, exec_lo, s8
	s_cbranch_execnz .LBB2_217
.LBB2_218:
	s_or_b32 exec_lo, exec_lo, s10
	v_readfirstlane_b32 s0, v30
	v_mov_b32_e32 v6, 0
	v_mov_b32_e32 v7, 0
	v_cmp_eq_u32_e64 s0, s0, v30
	s_and_saveexec_b32 s1, s0
	s_cbranch_execz .LBB2_224
; %bb.219:
	v_mov_b32_e32 v0, 0
	s_mov_b32 s8, exec_lo
	global_load_dwordx2 v[3:4], v0, s[6:7] offset:24 glc dlc
	s_waitcnt vmcnt(0)
	buffer_gl1_inv
	buffer_gl0_inv
	s_clause 0x1
	global_load_dwordx2 v[1:2], v0, s[6:7] offset:40
	global_load_dwordx2 v[5:6], v0, s[6:7]
	s_waitcnt vmcnt(1)
	v_and_b32_e32 v2, v2, v4
	v_and_b32_e32 v1, v1, v3
	v_mul_lo_u32 v2, v2, 24
	v_mul_hi_u32 v7, v1, 24
	v_mul_lo_u32 v1, v1, 24
	v_add_nc_u32_e32 v2, v7, v2
	s_waitcnt vmcnt(0)
	v_add_co_u32 v1, vcc_lo, v5, v1
	v_add_co_ci_u32_e64 v2, null, v6, v2, vcc_lo
	global_load_dwordx2 v[1:2], v[1:2], off glc dlc
	s_waitcnt vmcnt(0)
	global_atomic_cmpswap_x2 v[6:7], v0, v[1:4], s[6:7] offset:24 glc
	s_waitcnt vmcnt(0)
	buffer_gl1_inv
	buffer_gl0_inv
	v_cmpx_ne_u64_e64 v[6:7], v[3:4]
	s_cbranch_execz .LBB2_223
; %bb.220:
	s_mov_b32 s9, 0
	.p2align	6
.LBB2_221:                              ; =>This Inner Loop Header: Depth=1
	s_sleep 1
	s_clause 0x1
	global_load_dwordx2 v[1:2], v0, s[6:7] offset:40
	global_load_dwordx2 v[8:9], v0, s[6:7]
	v_mov_b32_e32 v3, v6
	v_mov_b32_e32 v4, v7
	s_waitcnt vmcnt(1)
	v_and_b32_e32 v1, v1, v3
	v_and_b32_e32 v2, v2, v4
	s_waitcnt vmcnt(0)
	v_mad_u64_u32 v[5:6], null, v1, 24, v[8:9]
	v_mov_b32_e32 v1, v6
	v_mad_u64_u32 v[1:2], null, v2, 24, v[1:2]
	v_mov_b32_e32 v6, v1
	global_load_dwordx2 v[1:2], v[5:6], off glc dlc
	s_waitcnt vmcnt(0)
	global_atomic_cmpswap_x2 v[6:7], v0, v[1:4], s[6:7] offset:24 glc
	s_waitcnt vmcnt(0)
	buffer_gl1_inv
	buffer_gl0_inv
	v_cmp_eq_u64_e32 vcc_lo, v[6:7], v[3:4]
	s_or_b32 s9, vcc_lo, s9
	s_andn2_b32 exec_lo, exec_lo, s9
	s_cbranch_execnz .LBB2_221
; %bb.222:
	s_or_b32 exec_lo, exec_lo, s9
.LBB2_223:
	s_or_b32 exec_lo, exec_lo, s8
.LBB2_224:
	s_or_b32 exec_lo, exec_lo, s1
	v_mov_b32_e32 v5, 0
	v_readfirstlane_b32 s9, v7
	v_readfirstlane_b32 s8, v6
	s_mov_b32 s1, exec_lo
	s_clause 0x1
	global_load_dwordx2 v[8:9], v5, s[6:7] offset:40
	global_load_dwordx4 v[0:3], v5, s[6:7]
	s_waitcnt vmcnt(1)
	v_readfirstlane_b32 s10, v8
	v_readfirstlane_b32 s11, v9
	s_and_b64 s[10:11], s[10:11], s[8:9]
	s_mul_i32 s12, s11, 24
	s_mul_hi_u32 s13, s10, 24
	s_mul_i32 s14, s10, 24
	s_add_i32 s13, s13, s12
	s_waitcnt vmcnt(0)
	v_add_co_u32 v8, vcc_lo, v0, s14
	v_add_co_ci_u32_e64 v9, null, s13, v1, vcc_lo
	s_and_saveexec_b32 s12, s0
	s_cbranch_execz .LBB2_226
; %bb.225:
	v_mov_b32_e32 v4, s1
	v_mov_b32_e32 v6, 2
	;; [unrolled: 1-line block ×3, first 2 shown]
	global_store_dwordx4 v[8:9], v[4:7], off offset:8
.LBB2_226:
	s_or_b32 exec_lo, exec_lo, s12
	s_lshl_b64 s[10:11], s[10:11], 12
	s_mov_b32 s12, 0
	v_add_co_u32 v2, vcc_lo, v2, s10
	v_add_co_ci_u32_e64 v3, null, s11, v3, vcc_lo
	s_mov_b32 s13, s12
	v_add_co_u32 v10, vcc_lo, v2, v28
	s_mov_b32 s14, s12
	s_mov_b32 s15, s12
	v_mov_b32_e32 v4, 33
	v_mov_b32_e32 v6, v5
	;; [unrolled: 1-line block ×3, first 2 shown]
	v_readfirstlane_b32 s10, v2
	v_readfirstlane_b32 s11, v3
	v_mov_b32_e32 v12, s12
	v_add_co_ci_u32_e64 v11, null, 0, v3, vcc_lo
	v_mov_b32_e32 v13, s13
	v_mov_b32_e32 v14, s14
	;; [unrolled: 1-line block ×3, first 2 shown]
	global_store_dwordx4 v28, v[4:7], s[10:11]
	global_store_dwordx4 v28, v[12:15], s[10:11] offset:16
	global_store_dwordx4 v28, v[12:15], s[10:11] offset:32
	;; [unrolled: 1-line block ×3, first 2 shown]
	s_and_saveexec_b32 s1, s0
	s_cbranch_execz .LBB2_234
; %bb.227:
	v_mov_b32_e32 v6, 0
	v_mov_b32_e32 v12, s8
	;; [unrolled: 1-line block ×3, first 2 shown]
	s_clause 0x1
	global_load_dwordx2 v[14:15], v6, s[6:7] offset:32 glc dlc
	global_load_dwordx2 v[2:3], v6, s[6:7] offset:40
	s_waitcnt vmcnt(0)
	v_readfirstlane_b32 s10, v2
	v_readfirstlane_b32 s11, v3
	s_and_b64 s[10:11], s[10:11], s[8:9]
	s_mul_i32 s11, s11, 24
	s_mul_hi_u32 s12, s10, 24
	s_mul_i32 s10, s10, 24
	s_add_i32 s12, s12, s11
	v_add_co_u32 v4, vcc_lo, v0, s10
	v_add_co_ci_u32_e64 v5, null, s12, v1, vcc_lo
	s_mov_b32 s10, exec_lo
	global_store_dwordx2 v[4:5], v[14:15], off
	s_waitcnt_vscnt null, 0x0
	global_atomic_cmpswap_x2 v[2:3], v6, v[12:15], s[6:7] offset:32 glc
	s_waitcnt vmcnt(0)
	v_cmpx_ne_u64_e64 v[2:3], v[14:15]
	s_cbranch_execz .LBB2_230
; %bb.228:
	s_mov_b32 s11, 0
.LBB2_229:                              ; =>This Inner Loop Header: Depth=1
	v_mov_b32_e32 v0, s8
	v_mov_b32_e32 v1, s9
	s_sleep 1
	global_store_dwordx2 v[4:5], v[2:3], off
	s_waitcnt_vscnt null, 0x0
	global_atomic_cmpswap_x2 v[0:1], v6, v[0:3], s[6:7] offset:32 glc
	s_waitcnt vmcnt(0)
	v_cmp_eq_u64_e32 vcc_lo, v[0:1], v[2:3]
	v_mov_b32_e32 v3, v1
	v_mov_b32_e32 v2, v0
	s_or_b32 s11, vcc_lo, s11
	s_andn2_b32 exec_lo, exec_lo, s11
	s_cbranch_execnz .LBB2_229
.LBB2_230:
	s_or_b32 exec_lo, exec_lo, s10
	v_mov_b32_e32 v3, 0
	s_mov_b32 s11, exec_lo
	s_mov_b32 s10, exec_lo
	v_mbcnt_lo_u32_b32 v2, s11, 0
	global_load_dwordx2 v[0:1], v3, s[6:7] offset:16
	v_cmpx_eq_u32_e32 0, v2
	s_cbranch_execz .LBB2_232
; %bb.231:
	s_bcnt1_i32_b32 s11, s11
	v_mov_b32_e32 v2, s11
	s_waitcnt vmcnt(0)
	global_atomic_add_x2 v[0:1], v[2:3], off offset:8
.LBB2_232:
	s_or_b32 exec_lo, exec_lo, s10
	s_waitcnt vmcnt(0)
	global_load_dwordx2 v[2:3], v[0:1], off offset:16
	s_waitcnt vmcnt(0)
	v_cmp_eq_u64_e32 vcc_lo, 0, v[2:3]
	s_cbranch_vccnz .LBB2_234
; %bb.233:
	global_load_dword v0, v[0:1], off offset:24
	v_mov_b32_e32 v1, 0
	s_waitcnt vmcnt(0)
	v_readfirstlane_b32 s10, v0
	s_waitcnt_vscnt null, 0x0
	global_store_dwordx2 v[2:3], v[0:1], off
	s_and_b32 m0, s10, 0x7fffff
	s_sendmsg sendmsg(MSG_INTERRUPT)
.LBB2_234:
	s_or_b32 exec_lo, exec_lo, s1
	s_branch .LBB2_238
	.p2align	6
.LBB2_235:                              ;   in Loop: Header=BB2_238 Depth=1
	s_or_b32 exec_lo, exec_lo, s1
	v_readfirstlane_b32 s1, v0
	s_cmp_eq_u32 s1, 0
	s_cbranch_scc1 .LBB2_237
; %bb.236:                              ;   in Loop: Header=BB2_238 Depth=1
	s_sleep 1
	s_cbranch_execnz .LBB2_238
	s_branch .LBB2_240
	.p2align	6
.LBB2_237:
	s_branch .LBB2_240
.LBB2_238:                              ; =>This Inner Loop Header: Depth=1
	v_mov_b32_e32 v0, 1
	s_and_saveexec_b32 s1, s0
	s_cbranch_execz .LBB2_235
; %bb.239:                              ;   in Loop: Header=BB2_238 Depth=1
	global_load_dword v0, v[8:9], off offset:20 glc dlc
	s_waitcnt vmcnt(0)
	buffer_gl1_inv
	buffer_gl0_inv
	v_and_b32_e32 v0, 1, v0
	s_branch .LBB2_235
.LBB2_240:
	global_load_dwordx2 v[0:1], v[10:11], off
	s_and_saveexec_b32 s10, s0
	s_cbranch_execz .LBB2_244
; %bb.241:
	v_mov_b32_e32 v8, 0
	s_clause 0x2
	global_load_dwordx2 v[2:3], v8, s[6:7] offset:40
	global_load_dwordx2 v[11:12], v8, s[6:7] offset:24 glc dlc
	global_load_dwordx2 v[4:5], v8, s[6:7]
	s_waitcnt vmcnt(2)
	v_readfirstlane_b32 s12, v2
	v_readfirstlane_b32 s13, v3
	s_add_u32 s11, s12, 1
	s_addc_u32 s14, s13, 0
	s_add_u32 s0, s11, s8
	s_addc_u32 s1, s14, s9
	s_cmp_eq_u64 s[0:1], 0
	s_cselect_b32 s1, s14, s1
	s_cselect_b32 s0, s11, s0
	v_mov_b32_e32 v10, s1
	s_and_b64 s[8:9], s[0:1], s[12:13]
	v_mov_b32_e32 v9, s0
	s_mul_i32 s9, s9, 24
	s_mul_hi_u32 s11, s8, 24
	s_mul_i32 s8, s8, 24
	s_add_i32 s11, s11, s9
	s_waitcnt vmcnt(0)
	v_add_co_u32 v6, vcc_lo, v4, s8
	v_add_co_ci_u32_e64 v7, null, s11, v5, vcc_lo
	global_store_dwordx2 v[6:7], v[11:12], off
	s_waitcnt_vscnt null, 0x0
	global_atomic_cmpswap_x2 v[4:5], v8, v[9:12], s[6:7] offset:24 glc
	s_waitcnt vmcnt(0)
	v_cmp_ne_u64_e32 vcc_lo, v[4:5], v[11:12]
	s_and_b32 exec_lo, exec_lo, vcc_lo
	s_cbranch_execz .LBB2_244
; %bb.242:
	s_mov_b32 s8, 0
.LBB2_243:                              ; =>This Inner Loop Header: Depth=1
	v_mov_b32_e32 v2, s0
	v_mov_b32_e32 v3, s1
	s_sleep 1
	global_store_dwordx2 v[6:7], v[4:5], off
	s_waitcnt_vscnt null, 0x0
	global_atomic_cmpswap_x2 v[2:3], v8, v[2:5], s[6:7] offset:24 glc
	s_waitcnt vmcnt(0)
	v_cmp_eq_u64_e32 vcc_lo, v[2:3], v[4:5]
	v_mov_b32_e32 v5, v3
	v_mov_b32_e32 v4, v2
	s_or_b32 s8, vcc_lo, s8
	s_andn2_b32 exec_lo, exec_lo, s8
	s_cbranch_execnz .LBB2_243
.LBB2_244:
	s_or_b32 exec_lo, exec_lo, s10
	s_getpc_b64 s[8:9]
	s_add_u32 s8, s8, .str.1@rel32@lo+4
	s_addc_u32 s9, s9, .str.1@rel32@hi+12
	s_cmp_lg_u64 s[8:9], 0
	s_cbranch_scc0 .LBB2_323
; %bb.245:
	s_waitcnt vmcnt(0)
	v_and_b32_e32 v31, 2, v0
	v_mov_b32_e32 v7, 0
	v_and_b32_e32 v2, -3, v0
	v_mov_b32_e32 v3, v1
	v_mov_b32_e32 v8, 2
	;; [unrolled: 1-line block ×3, first 2 shown]
	s_mov_b64 s[10:11], 48
	s_branch .LBB2_247
.LBB2_246:                              ;   in Loop: Header=BB2_247 Depth=1
	s_or_b32 exec_lo, exec_lo, s16
	s_sub_u32 s10, s10, s12
	s_subb_u32 s11, s11, s13
	s_add_u32 s8, s8, s12
	s_addc_u32 s9, s9, s13
	s_cmp_lg_u64 s[10:11], 0
	s_cbranch_scc0 .LBB2_322
.LBB2_247:                              ; =>This Loop Header: Depth=1
                                        ;     Child Loop BB2_250 Depth 2
                                        ;     Child Loop BB2_257 Depth 2
	;; [unrolled: 1-line block ×11, first 2 shown]
	v_cmp_lt_u64_e64 s0, s[10:11], 56
	v_cmp_gt_u64_e64 s14, s[10:11], 7
	s_and_b32 s0, s0, exec_lo
	s_cselect_b32 s13, s11, 0
	s_cselect_b32 s12, s10, 56
	s_add_u32 s0, s8, 8
	s_addc_u32 s1, s9, 0
	s_and_b32 vcc_lo, exec_lo, s14
	s_cbranch_vccnz .LBB2_252
; %bb.248:                              ;   in Loop: Header=BB2_247 Depth=1
	v_mov_b32_e32 v4, 0
	v_mov_b32_e32 v5, 0
	s_cmp_eq_u64 s[10:11], 0
	s_cbranch_scc1 .LBB2_251
; %bb.249:                              ;   in Loop: Header=BB2_247 Depth=1
	s_lshl_b64 s[0:1], s[12:13], 3
	s_mov_b64 s[14:15], 0
	s_mov_b64 s[16:17], s[8:9]
.LBB2_250:                              ;   Parent Loop BB2_247 Depth=1
                                        ; =>  This Inner Loop Header: Depth=2
	global_load_ubyte v6, v7, s[16:17]
	s_waitcnt vmcnt(0)
	v_and_b32_e32 v6, 0xffff, v6
	v_lshlrev_b64 v[10:11], s14, v[6:7]
	s_add_u32 s14, s14, 8
	s_addc_u32 s15, s15, 0
	s_add_u32 s16, s16, 1
	s_addc_u32 s17, s17, 0
	s_cmp_lg_u32 s0, s14
	v_or_b32_e32 v4, v10, v4
	v_or_b32_e32 v5, v11, v5
	s_cbranch_scc1 .LBB2_250
.LBB2_251:                              ;   in Loop: Header=BB2_247 Depth=1
	s_mov_b64 s[0:1], s[8:9]
	s_mov_b32 s18, 0
	s_cbranch_execz .LBB2_253
	s_branch .LBB2_254
.LBB2_252:                              ;   in Loop: Header=BB2_247 Depth=1
	s_mov_b32 s18, 0
.LBB2_253:                              ;   in Loop: Header=BB2_247 Depth=1
	global_load_dwordx2 v[4:5], v7, s[8:9]
	s_add_i32 s18, s12, -8
.LBB2_254:                              ;   in Loop: Header=BB2_247 Depth=1
	s_add_u32 s14, s0, 8
	s_addc_u32 s15, s1, 0
	s_cmp_gt_u32 s18, 7
	s_cbranch_scc1 .LBB2_259
; %bb.255:                              ;   in Loop: Header=BB2_247 Depth=1
	v_mov_b32_e32 v10, 0
	v_mov_b32_e32 v11, 0
	s_cmp_eq_u32 s18, 0
	s_cbranch_scc1 .LBB2_258
; %bb.256:                              ;   in Loop: Header=BB2_247 Depth=1
	s_mov_b64 s[14:15], 0
	s_mov_b64 s[16:17], 0
.LBB2_257:                              ;   Parent Loop BB2_247 Depth=1
                                        ; =>  This Inner Loop Header: Depth=2
	s_add_u32 s24, s0, s16
	s_addc_u32 s25, s1, s17
	s_add_u32 s16, s16, 1
	global_load_ubyte v6, v7, s[24:25]
	s_addc_u32 s17, s17, 0
	s_waitcnt vmcnt(0)
	v_and_b32_e32 v6, 0xffff, v6
	v_lshlrev_b64 v[12:13], s14, v[6:7]
	s_add_u32 s14, s14, 8
	s_addc_u32 s15, s15, 0
	s_cmp_lg_u32 s18, s16
	v_or_b32_e32 v10, v12, v10
	v_or_b32_e32 v11, v13, v11
	s_cbranch_scc1 .LBB2_257
.LBB2_258:                              ;   in Loop: Header=BB2_247 Depth=1
	s_mov_b64 s[14:15], s[0:1]
	s_mov_b32 s19, 0
	s_cbranch_execz .LBB2_260
	s_branch .LBB2_261
.LBB2_259:                              ;   in Loop: Header=BB2_247 Depth=1
                                        ; implicit-def: $vgpr10_vgpr11
	s_mov_b32 s19, 0
.LBB2_260:                              ;   in Loop: Header=BB2_247 Depth=1
	global_load_dwordx2 v[10:11], v7, s[0:1]
	s_add_i32 s19, s18, -8
.LBB2_261:                              ;   in Loop: Header=BB2_247 Depth=1
	s_add_u32 s0, s14, 8
	s_addc_u32 s1, s15, 0
	s_cmp_gt_u32 s19, 7
	s_cbranch_scc1 .LBB2_266
; %bb.262:                              ;   in Loop: Header=BB2_247 Depth=1
	v_mov_b32_e32 v12, 0
	v_mov_b32_e32 v13, 0
	s_cmp_eq_u32 s19, 0
	s_cbranch_scc1 .LBB2_265
; %bb.263:                              ;   in Loop: Header=BB2_247 Depth=1
	s_mov_b64 s[0:1], 0
	s_mov_b64 s[16:17], 0
.LBB2_264:                              ;   Parent Loop BB2_247 Depth=1
                                        ; =>  This Inner Loop Header: Depth=2
	s_add_u32 s24, s14, s16
	s_addc_u32 s25, s15, s17
	s_add_u32 s16, s16, 1
	global_load_ubyte v6, v7, s[24:25]
	s_addc_u32 s17, s17, 0
	s_waitcnt vmcnt(0)
	v_and_b32_e32 v6, 0xffff, v6
	v_lshlrev_b64 v[14:15], s0, v[6:7]
	s_add_u32 s0, s0, 8
	s_addc_u32 s1, s1, 0
	s_cmp_lg_u32 s19, s16
	v_or_b32_e32 v12, v14, v12
	v_or_b32_e32 v13, v15, v13
	s_cbranch_scc1 .LBB2_264
.LBB2_265:                              ;   in Loop: Header=BB2_247 Depth=1
	s_mov_b64 s[0:1], s[14:15]
	s_mov_b32 s18, 0
	s_cbranch_execz .LBB2_267
	s_branch .LBB2_268
.LBB2_266:                              ;   in Loop: Header=BB2_247 Depth=1
	s_mov_b32 s18, 0
.LBB2_267:                              ;   in Loop: Header=BB2_247 Depth=1
	global_load_dwordx2 v[12:13], v7, s[14:15]
	s_add_i32 s18, s19, -8
.LBB2_268:                              ;   in Loop: Header=BB2_247 Depth=1
	s_add_u32 s14, s0, 8
	s_addc_u32 s15, s1, 0
	s_cmp_gt_u32 s18, 7
	s_cbranch_scc1 .LBB2_273
; %bb.269:                              ;   in Loop: Header=BB2_247 Depth=1
	v_mov_b32_e32 v14, 0
	v_mov_b32_e32 v15, 0
	s_cmp_eq_u32 s18, 0
	s_cbranch_scc1 .LBB2_272
; %bb.270:                              ;   in Loop: Header=BB2_247 Depth=1
	s_mov_b64 s[14:15], 0
	s_mov_b64 s[16:17], 0
.LBB2_271:                              ;   Parent Loop BB2_247 Depth=1
                                        ; =>  This Inner Loop Header: Depth=2
	s_add_u32 s24, s0, s16
	s_addc_u32 s25, s1, s17
	s_add_u32 s16, s16, 1
	global_load_ubyte v6, v7, s[24:25]
	s_addc_u32 s17, s17, 0
	s_waitcnt vmcnt(0)
	v_and_b32_e32 v6, 0xffff, v6
	v_lshlrev_b64 v[16:17], s14, v[6:7]
	s_add_u32 s14, s14, 8
	s_addc_u32 s15, s15, 0
	s_cmp_lg_u32 s18, s16
	v_or_b32_e32 v14, v16, v14
	v_or_b32_e32 v15, v17, v15
	s_cbranch_scc1 .LBB2_271
.LBB2_272:                              ;   in Loop: Header=BB2_247 Depth=1
	s_mov_b64 s[14:15], s[0:1]
	s_mov_b32 s19, 0
	s_cbranch_execz .LBB2_274
	s_branch .LBB2_275
.LBB2_273:                              ;   in Loop: Header=BB2_247 Depth=1
                                        ; implicit-def: $vgpr14_vgpr15
	s_mov_b32 s19, 0
.LBB2_274:                              ;   in Loop: Header=BB2_247 Depth=1
	global_load_dwordx2 v[14:15], v7, s[0:1]
	s_add_i32 s19, s18, -8
.LBB2_275:                              ;   in Loop: Header=BB2_247 Depth=1
	s_add_u32 s0, s14, 8
	s_addc_u32 s1, s15, 0
	s_cmp_gt_u32 s19, 7
	s_cbranch_scc1 .LBB2_280
; %bb.276:                              ;   in Loop: Header=BB2_247 Depth=1
	v_mov_b32_e32 v16, 0
	v_mov_b32_e32 v17, 0
	s_cmp_eq_u32 s19, 0
	s_cbranch_scc1 .LBB2_279
; %bb.277:                              ;   in Loop: Header=BB2_247 Depth=1
	s_mov_b64 s[0:1], 0
	s_mov_b64 s[16:17], 0
.LBB2_278:                              ;   Parent Loop BB2_247 Depth=1
                                        ; =>  This Inner Loop Header: Depth=2
	s_add_u32 s24, s14, s16
	s_addc_u32 s25, s15, s17
	s_add_u32 s16, s16, 1
	global_load_ubyte v6, v7, s[24:25]
	s_addc_u32 s17, s17, 0
	s_waitcnt vmcnt(0)
	v_and_b32_e32 v6, 0xffff, v6
	v_lshlrev_b64 v[18:19], s0, v[6:7]
	s_add_u32 s0, s0, 8
	s_addc_u32 s1, s1, 0
	s_cmp_lg_u32 s19, s16
	v_or_b32_e32 v16, v18, v16
	v_or_b32_e32 v17, v19, v17
	s_cbranch_scc1 .LBB2_278
.LBB2_279:                              ;   in Loop: Header=BB2_247 Depth=1
	s_mov_b64 s[0:1], s[14:15]
	s_mov_b32 s18, 0
	s_cbranch_execz .LBB2_281
	s_branch .LBB2_282
.LBB2_280:                              ;   in Loop: Header=BB2_247 Depth=1
	s_mov_b32 s18, 0
.LBB2_281:                              ;   in Loop: Header=BB2_247 Depth=1
	global_load_dwordx2 v[16:17], v7, s[14:15]
	s_add_i32 s18, s19, -8
.LBB2_282:                              ;   in Loop: Header=BB2_247 Depth=1
	s_add_u32 s14, s0, 8
	s_addc_u32 s15, s1, 0
	s_cmp_gt_u32 s18, 7
	s_cbranch_scc1 .LBB2_287
; %bb.283:                              ;   in Loop: Header=BB2_247 Depth=1
	v_mov_b32_e32 v18, 0
	v_mov_b32_e32 v19, 0
	s_cmp_eq_u32 s18, 0
	s_cbranch_scc1 .LBB2_286
; %bb.284:                              ;   in Loop: Header=BB2_247 Depth=1
	s_mov_b64 s[14:15], 0
	s_mov_b64 s[16:17], 0
.LBB2_285:                              ;   Parent Loop BB2_247 Depth=1
                                        ; =>  This Inner Loop Header: Depth=2
	s_add_u32 s24, s0, s16
	s_addc_u32 s25, s1, s17
	s_add_u32 s16, s16, 1
	global_load_ubyte v6, v7, s[24:25]
	s_addc_u32 s17, s17, 0
	s_waitcnt vmcnt(0)
	v_and_b32_e32 v6, 0xffff, v6
	v_lshlrev_b64 v[20:21], s14, v[6:7]
	s_add_u32 s14, s14, 8
	s_addc_u32 s15, s15, 0
	s_cmp_lg_u32 s18, s16
	v_or_b32_e32 v18, v20, v18
	v_or_b32_e32 v19, v21, v19
	s_cbranch_scc1 .LBB2_285
.LBB2_286:                              ;   in Loop: Header=BB2_247 Depth=1
	s_mov_b64 s[14:15], s[0:1]
	s_mov_b32 s19, 0
	s_cbranch_execz .LBB2_288
	s_branch .LBB2_289
.LBB2_287:                              ;   in Loop: Header=BB2_247 Depth=1
                                        ; implicit-def: $vgpr18_vgpr19
	s_mov_b32 s19, 0
.LBB2_288:                              ;   in Loop: Header=BB2_247 Depth=1
	global_load_dwordx2 v[18:19], v7, s[0:1]
	s_add_i32 s19, s18, -8
.LBB2_289:                              ;   in Loop: Header=BB2_247 Depth=1
	s_cmp_gt_u32 s19, 7
	s_cbranch_scc1 .LBB2_294
; %bb.290:                              ;   in Loop: Header=BB2_247 Depth=1
	v_mov_b32_e32 v20, 0
	v_mov_b32_e32 v21, 0
	s_cmp_eq_u32 s19, 0
	s_cbranch_scc1 .LBB2_293
; %bb.291:                              ;   in Loop: Header=BB2_247 Depth=1
	s_mov_b64 s[0:1], 0
	s_mov_b64 s[16:17], s[14:15]
.LBB2_292:                              ;   Parent Loop BB2_247 Depth=1
                                        ; =>  This Inner Loop Header: Depth=2
	global_load_ubyte v6, v7, s[16:17]
	s_add_i32 s19, s19, -1
	s_waitcnt vmcnt(0)
	v_and_b32_e32 v6, 0xffff, v6
	v_lshlrev_b64 v[22:23], s0, v[6:7]
	s_add_u32 s0, s0, 8
	s_addc_u32 s1, s1, 0
	s_add_u32 s16, s16, 1
	s_addc_u32 s17, s17, 0
	s_cmp_lg_u32 s19, 0
	v_or_b32_e32 v20, v22, v20
	v_or_b32_e32 v21, v23, v21
	s_cbranch_scc1 .LBB2_292
.LBB2_293:                              ;   in Loop: Header=BB2_247 Depth=1
	s_cbranch_execz .LBB2_295
	s_branch .LBB2_296
.LBB2_294:                              ;   in Loop: Header=BB2_247 Depth=1
.LBB2_295:                              ;   in Loop: Header=BB2_247 Depth=1
	global_load_dwordx2 v[20:21], v7, s[14:15]
.LBB2_296:                              ;   in Loop: Header=BB2_247 Depth=1
	v_readfirstlane_b32 s0, v30
	v_mov_b32_e32 v26, 0
	v_mov_b32_e32 v27, 0
	v_cmp_eq_u32_e64 s0, s0, v30
	s_and_saveexec_b32 s1, s0
	s_cbranch_execz .LBB2_302
; %bb.297:                              ;   in Loop: Header=BB2_247 Depth=1
	global_load_dwordx2 v[24:25], v7, s[6:7] offset:24 glc dlc
	s_waitcnt vmcnt(0)
	buffer_gl1_inv
	buffer_gl0_inv
	s_clause 0x1
	global_load_dwordx2 v[22:23], v7, s[6:7] offset:40
	global_load_dwordx2 v[26:27], v7, s[6:7]
	s_mov_b32 s14, exec_lo
	s_waitcnt vmcnt(1)
	v_and_b32_e32 v6, v23, v25
	v_and_b32_e32 v22, v22, v24
	v_mul_lo_u32 v6, v6, 24
	v_mul_hi_u32 v23, v22, 24
	v_mul_lo_u32 v22, v22, 24
	v_add_nc_u32_e32 v6, v23, v6
	s_waitcnt vmcnt(0)
	v_add_co_u32 v22, vcc_lo, v26, v22
	v_add_co_ci_u32_e64 v23, null, v27, v6, vcc_lo
	global_load_dwordx2 v[22:23], v[22:23], off glc dlc
	s_waitcnt vmcnt(0)
	global_atomic_cmpswap_x2 v[26:27], v7, v[22:25], s[6:7] offset:24 glc
	s_waitcnt vmcnt(0)
	buffer_gl1_inv
	buffer_gl0_inv
	v_cmpx_ne_u64_e64 v[26:27], v[24:25]
	s_cbranch_execz .LBB2_301
; %bb.298:                              ;   in Loop: Header=BB2_247 Depth=1
	s_mov_b32 s15, 0
	.p2align	6
.LBB2_299:                              ;   Parent Loop BB2_247 Depth=1
                                        ; =>  This Inner Loop Header: Depth=2
	s_sleep 1
	s_clause 0x1
	global_load_dwordx2 v[22:23], v7, s[6:7] offset:40
	global_load_dwordx2 v[32:33], v7, s[6:7]
	v_mov_b32_e32 v24, v26
	v_mov_b32_e32 v25, v27
	s_waitcnt vmcnt(1)
	v_and_b32_e32 v6, v22, v24
	v_and_b32_e32 v22, v23, v25
	s_waitcnt vmcnt(0)
	v_mad_u64_u32 v[26:27], null, v6, 24, v[32:33]
	v_mov_b32_e32 v6, v27
	v_mad_u64_u32 v[22:23], null, v22, 24, v[6:7]
	v_mov_b32_e32 v27, v22
	global_load_dwordx2 v[22:23], v[26:27], off glc dlc
	s_waitcnt vmcnt(0)
	global_atomic_cmpswap_x2 v[26:27], v7, v[22:25], s[6:7] offset:24 glc
	s_waitcnt vmcnt(0)
	buffer_gl1_inv
	buffer_gl0_inv
	v_cmp_eq_u64_e32 vcc_lo, v[26:27], v[24:25]
	s_or_b32 s15, vcc_lo, s15
	s_andn2_b32 exec_lo, exec_lo, s15
	s_cbranch_execnz .LBB2_299
; %bb.300:                              ;   in Loop: Header=BB2_247 Depth=1
	s_or_b32 exec_lo, exec_lo, s15
.LBB2_301:                              ;   in Loop: Header=BB2_247 Depth=1
	s_or_b32 exec_lo, exec_lo, s14
.LBB2_302:                              ;   in Loop: Header=BB2_247 Depth=1
	s_or_b32 exec_lo, exec_lo, s1
	s_clause 0x1
	global_load_dwordx2 v[32:33], v7, s[6:7] offset:40
	global_load_dwordx4 v[22:25], v7, s[6:7]
	v_readfirstlane_b32 s15, v27
	v_readfirstlane_b32 s14, v26
	s_mov_b32 s1, exec_lo
	s_waitcnt vmcnt(1)
	v_readfirstlane_b32 s16, v32
	v_readfirstlane_b32 s17, v33
	s_and_b64 s[16:17], s[16:17], s[14:15]
	s_mul_i32 s18, s17, 24
	s_mul_hi_u32 s19, s16, 24
	s_mul_i32 s24, s16, 24
	s_add_i32 s19, s19, s18
	s_waitcnt vmcnt(0)
	v_add_co_u32 v26, vcc_lo, v22, s24
	v_add_co_ci_u32_e64 v27, null, s19, v23, vcc_lo
	s_and_saveexec_b32 s18, s0
	s_cbranch_execz .LBB2_304
; %bb.303:                              ;   in Loop: Header=BB2_247 Depth=1
	v_mov_b32_e32 v6, s1
	global_store_dwordx4 v[26:27], v[6:9], off offset:8
.LBB2_304:                              ;   in Loop: Header=BB2_247 Depth=1
	s_or_b32 exec_lo, exec_lo, s18
	v_cmp_lt_u64_e64 vcc_lo, s[10:11], 57
	s_lshl_b64 s[16:17], s[16:17], 12
	v_and_b32_e32 v2, 0xffffff1f, v2
	s_lshl_b32 s1, s12, 2
	s_add_i32 s1, s1, 28
	v_cndmask_b32_e32 v6, 0, v31, vcc_lo
	v_add_co_u32 v24, vcc_lo, v24, s16
	v_add_co_ci_u32_e64 v25, null, s17, v25, vcc_lo
	v_or_b32_e32 v2, v2, v6
	v_readfirstlane_b32 s16, v24
	v_readfirstlane_b32 s17, v25
	v_and_or_b32 v2, 0x1e0, s1, v2
	global_store_dwordx4 v28, v[10:13], s[16:17] offset:16
	global_store_dwordx4 v28, v[2:5], s[16:17]
	global_store_dwordx4 v28, v[14:17], s[16:17] offset:32
	global_store_dwordx4 v28, v[18:21], s[16:17] offset:48
	s_and_saveexec_b32 s1, s0
	s_cbranch_execz .LBB2_312
; %bb.305:                              ;   in Loop: Header=BB2_247 Depth=1
	s_clause 0x1
	global_load_dwordx2 v[14:15], v7, s[6:7] offset:32 glc dlc
	global_load_dwordx2 v[2:3], v7, s[6:7] offset:40
	v_mov_b32_e32 v12, s14
	v_mov_b32_e32 v13, s15
	s_waitcnt vmcnt(0)
	v_readfirstlane_b32 s16, v2
	v_readfirstlane_b32 s17, v3
	s_and_b64 s[16:17], s[16:17], s[14:15]
	s_mul_i32 s17, s17, 24
	s_mul_hi_u32 s18, s16, 24
	s_mul_i32 s16, s16, 24
	s_add_i32 s18, s18, s17
	v_add_co_u32 v10, vcc_lo, v22, s16
	v_add_co_ci_u32_e64 v11, null, s18, v23, vcc_lo
	s_mov_b32 s16, exec_lo
	global_store_dwordx2 v[10:11], v[14:15], off
	s_waitcnt_vscnt null, 0x0
	global_atomic_cmpswap_x2 v[4:5], v7, v[12:15], s[6:7] offset:32 glc
	s_waitcnt vmcnt(0)
	v_cmpx_ne_u64_e64 v[4:5], v[14:15]
	s_cbranch_execz .LBB2_308
; %bb.306:                              ;   in Loop: Header=BB2_247 Depth=1
	s_mov_b32 s17, 0
.LBB2_307:                              ;   Parent Loop BB2_247 Depth=1
                                        ; =>  This Inner Loop Header: Depth=2
	v_mov_b32_e32 v2, s14
	v_mov_b32_e32 v3, s15
	s_sleep 1
	global_store_dwordx2 v[10:11], v[4:5], off
	s_waitcnt_vscnt null, 0x0
	global_atomic_cmpswap_x2 v[2:3], v7, v[2:5], s[6:7] offset:32 glc
	s_waitcnt vmcnt(0)
	v_cmp_eq_u64_e32 vcc_lo, v[2:3], v[4:5]
	v_mov_b32_e32 v5, v3
	v_mov_b32_e32 v4, v2
	s_or_b32 s17, vcc_lo, s17
	s_andn2_b32 exec_lo, exec_lo, s17
	s_cbranch_execnz .LBB2_307
.LBB2_308:                              ;   in Loop: Header=BB2_247 Depth=1
	s_or_b32 exec_lo, exec_lo, s16
	global_load_dwordx2 v[2:3], v7, s[6:7] offset:16
	s_mov_b32 s17, exec_lo
	s_mov_b32 s16, exec_lo
	v_mbcnt_lo_u32_b32 v4, s17, 0
	v_cmpx_eq_u32_e32 0, v4
	s_cbranch_execz .LBB2_310
; %bb.309:                              ;   in Loop: Header=BB2_247 Depth=1
	s_bcnt1_i32_b32 s17, s17
	v_mov_b32_e32 v6, s17
	s_waitcnt vmcnt(0)
	global_atomic_add_x2 v[2:3], v[6:7], off offset:8
.LBB2_310:                              ;   in Loop: Header=BB2_247 Depth=1
	s_or_b32 exec_lo, exec_lo, s16
	s_waitcnt vmcnt(0)
	global_load_dwordx2 v[4:5], v[2:3], off offset:16
	s_waitcnt vmcnt(0)
	v_cmp_eq_u64_e32 vcc_lo, 0, v[4:5]
	s_cbranch_vccnz .LBB2_312
; %bb.311:                              ;   in Loop: Header=BB2_247 Depth=1
	global_load_dword v6, v[2:3], off offset:24
	s_waitcnt vmcnt(0)
	v_readfirstlane_b32 s16, v6
	s_waitcnt_vscnt null, 0x0
	global_store_dwordx2 v[4:5], v[6:7], off
	s_and_b32 m0, s16, 0x7fffff
	s_sendmsg sendmsg(MSG_INTERRUPT)
.LBB2_312:                              ;   in Loop: Header=BB2_247 Depth=1
	s_or_b32 exec_lo, exec_lo, s1
	v_add_co_u32 v2, vcc_lo, v24, v28
	v_add_co_ci_u32_e64 v3, null, 0, v25, vcc_lo
	s_branch .LBB2_316
	.p2align	6
.LBB2_313:                              ;   in Loop: Header=BB2_316 Depth=2
	s_or_b32 exec_lo, exec_lo, s1
	v_readfirstlane_b32 s1, v4
	s_cmp_eq_u32 s1, 0
	s_cbranch_scc1 .LBB2_315
; %bb.314:                              ;   in Loop: Header=BB2_316 Depth=2
	s_sleep 1
	s_cbranch_execnz .LBB2_316
	s_branch .LBB2_318
	.p2align	6
.LBB2_315:                              ;   in Loop: Header=BB2_247 Depth=1
	s_branch .LBB2_318
.LBB2_316:                              ;   Parent Loop BB2_247 Depth=1
                                        ; =>  This Inner Loop Header: Depth=2
	v_mov_b32_e32 v4, 1
	s_and_saveexec_b32 s1, s0
	s_cbranch_execz .LBB2_313
; %bb.317:                              ;   in Loop: Header=BB2_316 Depth=2
	global_load_dword v4, v[26:27], off offset:20 glc dlc
	s_waitcnt vmcnt(0)
	buffer_gl1_inv
	buffer_gl0_inv
	v_and_b32_e32 v4, 1, v4
	s_branch .LBB2_313
.LBB2_318:                              ;   in Loop: Header=BB2_247 Depth=1
	global_load_dwordx2 v[2:3], v[2:3], off
	s_and_saveexec_b32 s16, s0
	s_cbranch_execz .LBB2_246
; %bb.319:                              ;   in Loop: Header=BB2_247 Depth=1
	s_clause 0x2
	global_load_dwordx2 v[4:5], v7, s[6:7] offset:40
	global_load_dwordx2 v[14:15], v7, s[6:7] offset:24 glc dlc
	global_load_dwordx2 v[10:11], v7, s[6:7]
	s_waitcnt vmcnt(2)
	v_readfirstlane_b32 s18, v4
	v_readfirstlane_b32 s19, v5
	s_add_u32 s17, s18, 1
	s_addc_u32 s24, s19, 0
	s_add_u32 s0, s17, s14
	s_addc_u32 s1, s24, s15
	s_cmp_eq_u64 s[0:1], 0
	s_cselect_b32 s1, s24, s1
	s_cselect_b32 s0, s17, s0
	v_mov_b32_e32 v13, s1
	s_and_b64 s[14:15], s[0:1], s[18:19]
	v_mov_b32_e32 v12, s0
	s_mul_i32 s15, s15, 24
	s_mul_hi_u32 s17, s14, 24
	s_mul_i32 s14, s14, 24
	s_add_i32 s17, s17, s15
	s_waitcnt vmcnt(0)
	v_add_co_u32 v4, vcc_lo, v10, s14
	v_add_co_ci_u32_e64 v5, null, s17, v11, vcc_lo
	global_store_dwordx2 v[4:5], v[14:15], off
	s_waitcnt_vscnt null, 0x0
	global_atomic_cmpswap_x2 v[12:13], v7, v[12:15], s[6:7] offset:24 glc
	s_waitcnt vmcnt(0)
	v_cmp_ne_u64_e32 vcc_lo, v[12:13], v[14:15]
	s_and_b32 exec_lo, exec_lo, vcc_lo
	s_cbranch_execz .LBB2_246
; %bb.320:                              ;   in Loop: Header=BB2_247 Depth=1
	s_mov_b32 s14, 0
.LBB2_321:                              ;   Parent Loop BB2_247 Depth=1
                                        ; =>  This Inner Loop Header: Depth=2
	v_mov_b32_e32 v10, s0
	v_mov_b32_e32 v11, s1
	s_sleep 1
	global_store_dwordx2 v[4:5], v[12:13], off
	s_waitcnt_vscnt null, 0x0
	global_atomic_cmpswap_x2 v[10:11], v7, v[10:13], s[6:7] offset:24 glc
	s_waitcnt vmcnt(0)
	v_cmp_eq_u64_e32 vcc_lo, v[10:11], v[12:13]
	v_mov_b32_e32 v13, v11
	v_mov_b32_e32 v12, v10
	s_or_b32 s14, vcc_lo, s14
	s_andn2_b32 exec_lo, exec_lo, s14
	s_cbranch_execnz .LBB2_321
	s_branch .LBB2_246
.LBB2_322:
	s_branch .LBB2_351
.LBB2_323:
                                        ; implicit-def: $vgpr2_vgpr3
	s_cbranch_execz .LBB2_351
; %bb.324:
	v_readfirstlane_b32 s0, v30
	v_mov_b32_e32 v8, 0
	v_mov_b32_e32 v9, 0
	v_cmp_eq_u32_e64 s0, s0, v30
	s_and_saveexec_b32 s1, s0
	s_cbranch_execz .LBB2_330
; %bb.325:
	s_waitcnt vmcnt(0)
	v_mov_b32_e32 v2, 0
	s_mov_b32 s8, exec_lo
	global_load_dwordx2 v[5:6], v2, s[6:7] offset:24 glc dlc
	s_waitcnt vmcnt(0)
	buffer_gl1_inv
	buffer_gl0_inv
	s_clause 0x1
	global_load_dwordx2 v[3:4], v2, s[6:7] offset:40
	global_load_dwordx2 v[7:8], v2, s[6:7]
	s_waitcnt vmcnt(1)
	v_and_b32_e32 v4, v4, v6
	v_and_b32_e32 v3, v3, v5
	v_mul_lo_u32 v4, v4, 24
	v_mul_hi_u32 v9, v3, 24
	v_mul_lo_u32 v3, v3, 24
	v_add_nc_u32_e32 v4, v9, v4
	s_waitcnt vmcnt(0)
	v_add_co_u32 v3, vcc_lo, v7, v3
	v_add_co_ci_u32_e64 v4, null, v8, v4, vcc_lo
	global_load_dwordx2 v[3:4], v[3:4], off glc dlc
	s_waitcnt vmcnt(0)
	global_atomic_cmpswap_x2 v[8:9], v2, v[3:6], s[6:7] offset:24 glc
	s_waitcnt vmcnt(0)
	buffer_gl1_inv
	buffer_gl0_inv
	v_cmpx_ne_u64_e64 v[8:9], v[5:6]
	s_cbranch_execz .LBB2_329
; %bb.326:
	s_mov_b32 s9, 0
	.p2align	6
.LBB2_327:                              ; =>This Inner Loop Header: Depth=1
	s_sleep 1
	s_clause 0x1
	global_load_dwordx2 v[3:4], v2, s[6:7] offset:40
	global_load_dwordx2 v[10:11], v2, s[6:7]
	v_mov_b32_e32 v5, v8
	v_mov_b32_e32 v6, v9
	s_waitcnt vmcnt(1)
	v_and_b32_e32 v3, v3, v5
	v_and_b32_e32 v4, v4, v6
	s_waitcnt vmcnt(0)
	v_mad_u64_u32 v[7:8], null, v3, 24, v[10:11]
	v_mov_b32_e32 v3, v8
	v_mad_u64_u32 v[3:4], null, v4, 24, v[3:4]
	v_mov_b32_e32 v8, v3
	global_load_dwordx2 v[3:4], v[7:8], off glc dlc
	s_waitcnt vmcnt(0)
	global_atomic_cmpswap_x2 v[8:9], v2, v[3:6], s[6:7] offset:24 glc
	s_waitcnt vmcnt(0)
	buffer_gl1_inv
	buffer_gl0_inv
	v_cmp_eq_u64_e32 vcc_lo, v[8:9], v[5:6]
	s_or_b32 s9, vcc_lo, s9
	s_andn2_b32 exec_lo, exec_lo, s9
	s_cbranch_execnz .LBB2_327
; %bb.328:
	s_or_b32 exec_lo, exec_lo, s9
.LBB2_329:
	s_or_b32 exec_lo, exec_lo, s8
.LBB2_330:
	s_or_b32 exec_lo, exec_lo, s1
	s_waitcnt vmcnt(0)
	v_mov_b32_e32 v2, 0
	v_readfirstlane_b32 s9, v9
	v_readfirstlane_b32 s8, v8
	s_mov_b32 s1, exec_lo
	s_clause 0x1
	global_load_dwordx2 v[10:11], v2, s[6:7] offset:40
	global_load_dwordx4 v[4:7], v2, s[6:7]
	s_waitcnt vmcnt(1)
	v_readfirstlane_b32 s10, v10
	v_readfirstlane_b32 s11, v11
	s_and_b64 s[10:11], s[10:11], s[8:9]
	s_mul_i32 s12, s11, 24
	s_mul_hi_u32 s13, s10, 24
	s_mul_i32 s14, s10, 24
	s_add_i32 s13, s13, s12
	s_waitcnt vmcnt(0)
	v_add_co_u32 v8, vcc_lo, v4, s14
	v_add_co_ci_u32_e64 v9, null, s13, v5, vcc_lo
	s_and_saveexec_b32 s12, s0
	s_cbranch_execz .LBB2_332
; %bb.331:
	v_mov_b32_e32 v10, s1
	v_mov_b32_e32 v11, v2
	;; [unrolled: 1-line block ×4, first 2 shown]
	global_store_dwordx4 v[8:9], v[10:13], off offset:8
.LBB2_332:
	s_or_b32 exec_lo, exec_lo, s12
	s_lshl_b64 s[10:11], s[10:11], 12
	s_mov_b32 s12, 0
	v_add_co_u32 v6, vcc_lo, v6, s10
	v_add_co_ci_u32_e64 v7, null, s11, v7, vcc_lo
	s_mov_b32 s13, s12
	v_readfirstlane_b32 s10, v6
	v_add_co_u32 v6, vcc_lo, v6, v28
	s_mov_b32 s14, s12
	s_mov_b32 s15, s12
	v_and_or_b32 v0, 0xffffff1f, v0, 32
	v_mov_b32_e32 v3, v2
	v_readfirstlane_b32 s11, v7
	v_mov_b32_e32 v10, s12
	v_add_co_ci_u32_e64 v7, null, 0, v7, vcc_lo
	v_mov_b32_e32 v11, s13
	v_mov_b32_e32 v12, s14
	;; [unrolled: 1-line block ×3, first 2 shown]
	global_store_dwordx4 v28, v[0:3], s[10:11]
	global_store_dwordx4 v28, v[10:13], s[10:11] offset:16
	global_store_dwordx4 v28, v[10:13], s[10:11] offset:32
	;; [unrolled: 1-line block ×3, first 2 shown]
	s_and_saveexec_b32 s1, s0
	s_cbranch_execz .LBB2_340
; %bb.333:
	v_mov_b32_e32 v10, 0
	v_mov_b32_e32 v11, s8
	;; [unrolled: 1-line block ×3, first 2 shown]
	s_clause 0x1
	global_load_dwordx2 v[13:14], v10, s[6:7] offset:32 glc dlc
	global_load_dwordx2 v[0:1], v10, s[6:7] offset:40
	s_waitcnt vmcnt(0)
	v_readfirstlane_b32 s10, v0
	v_readfirstlane_b32 s11, v1
	s_and_b64 s[10:11], s[10:11], s[8:9]
	s_mul_i32 s11, s11, 24
	s_mul_hi_u32 s12, s10, 24
	s_mul_i32 s10, s10, 24
	s_add_i32 s12, s12, s11
	v_add_co_u32 v4, vcc_lo, v4, s10
	v_add_co_ci_u32_e64 v5, null, s12, v5, vcc_lo
	s_mov_b32 s10, exec_lo
	global_store_dwordx2 v[4:5], v[13:14], off
	s_waitcnt_vscnt null, 0x0
	global_atomic_cmpswap_x2 v[2:3], v10, v[11:14], s[6:7] offset:32 glc
	s_waitcnt vmcnt(0)
	v_cmpx_ne_u64_e64 v[2:3], v[13:14]
	s_cbranch_execz .LBB2_336
; %bb.334:
	s_mov_b32 s11, 0
.LBB2_335:                              ; =>This Inner Loop Header: Depth=1
	v_mov_b32_e32 v0, s8
	v_mov_b32_e32 v1, s9
	s_sleep 1
	global_store_dwordx2 v[4:5], v[2:3], off
	s_waitcnt_vscnt null, 0x0
	global_atomic_cmpswap_x2 v[0:1], v10, v[0:3], s[6:7] offset:32 glc
	s_waitcnt vmcnt(0)
	v_cmp_eq_u64_e32 vcc_lo, v[0:1], v[2:3]
	v_mov_b32_e32 v3, v1
	v_mov_b32_e32 v2, v0
	s_or_b32 s11, vcc_lo, s11
	s_andn2_b32 exec_lo, exec_lo, s11
	s_cbranch_execnz .LBB2_335
.LBB2_336:
	s_or_b32 exec_lo, exec_lo, s10
	v_mov_b32_e32 v3, 0
	s_mov_b32 s11, exec_lo
	s_mov_b32 s10, exec_lo
	v_mbcnt_lo_u32_b32 v2, s11, 0
	global_load_dwordx2 v[0:1], v3, s[6:7] offset:16
	v_cmpx_eq_u32_e32 0, v2
	s_cbranch_execz .LBB2_338
; %bb.337:
	s_bcnt1_i32_b32 s11, s11
	v_mov_b32_e32 v2, s11
	s_waitcnt vmcnt(0)
	global_atomic_add_x2 v[0:1], v[2:3], off offset:8
.LBB2_338:
	s_or_b32 exec_lo, exec_lo, s10
	s_waitcnt vmcnt(0)
	global_load_dwordx2 v[2:3], v[0:1], off offset:16
	s_waitcnt vmcnt(0)
	v_cmp_eq_u64_e32 vcc_lo, 0, v[2:3]
	s_cbranch_vccnz .LBB2_340
; %bb.339:
	global_load_dword v0, v[0:1], off offset:24
	v_mov_b32_e32 v1, 0
	s_waitcnt vmcnt(0)
	v_readfirstlane_b32 s10, v0
	s_waitcnt_vscnt null, 0x0
	global_store_dwordx2 v[2:3], v[0:1], off
	s_and_b32 m0, s10, 0x7fffff
	s_sendmsg sendmsg(MSG_INTERRUPT)
.LBB2_340:
	s_or_b32 exec_lo, exec_lo, s1
	s_branch .LBB2_344
	.p2align	6
.LBB2_341:                              ;   in Loop: Header=BB2_344 Depth=1
	s_or_b32 exec_lo, exec_lo, s1
	v_readfirstlane_b32 s1, v0
	s_cmp_eq_u32 s1, 0
	s_cbranch_scc1 .LBB2_343
; %bb.342:                              ;   in Loop: Header=BB2_344 Depth=1
	s_sleep 1
	s_cbranch_execnz .LBB2_344
	s_branch .LBB2_346
	.p2align	6
.LBB2_343:
	s_branch .LBB2_346
.LBB2_344:                              ; =>This Inner Loop Header: Depth=1
	v_mov_b32_e32 v0, 1
	s_and_saveexec_b32 s1, s0
	s_cbranch_execz .LBB2_341
; %bb.345:                              ;   in Loop: Header=BB2_344 Depth=1
	global_load_dword v0, v[8:9], off offset:20 glc dlc
	s_waitcnt vmcnt(0)
	buffer_gl1_inv
	buffer_gl0_inv
	v_and_b32_e32 v0, 1, v0
	s_branch .LBB2_341
.LBB2_346:
	global_load_dwordx2 v[2:3], v[6:7], off
	s_and_saveexec_b32 s10, s0
	s_cbranch_execz .LBB2_350
; %bb.347:
	v_mov_b32_e32 v8, 0
	s_clause 0x2
	global_load_dwordx2 v[0:1], v8, s[6:7] offset:40
	global_load_dwordx2 v[11:12], v8, s[6:7] offset:24 glc dlc
	global_load_dwordx2 v[4:5], v8, s[6:7]
	s_waitcnt vmcnt(2)
	v_readfirstlane_b32 s12, v0
	v_readfirstlane_b32 s13, v1
	s_add_u32 s11, s12, 1
	s_addc_u32 s14, s13, 0
	s_add_u32 s0, s11, s8
	s_addc_u32 s1, s14, s9
	s_cmp_eq_u64 s[0:1], 0
	s_cselect_b32 s1, s14, s1
	s_cselect_b32 s0, s11, s0
	v_mov_b32_e32 v10, s1
	s_and_b64 s[8:9], s[0:1], s[12:13]
	v_mov_b32_e32 v9, s0
	s_mul_i32 s9, s9, 24
	s_mul_hi_u32 s11, s8, 24
	s_mul_i32 s8, s8, 24
	s_add_i32 s11, s11, s9
	s_waitcnt vmcnt(0)
	v_add_co_u32 v0, vcc_lo, v4, s8
	v_add_co_ci_u32_e64 v1, null, s11, v5, vcc_lo
	global_store_dwordx2 v[0:1], v[11:12], off
	s_waitcnt_vscnt null, 0x0
	global_atomic_cmpswap_x2 v[6:7], v8, v[9:12], s[6:7] offset:24 glc
	s_waitcnt vmcnt(0)
	v_cmp_ne_u64_e32 vcc_lo, v[6:7], v[11:12]
	s_and_b32 exec_lo, exec_lo, vcc_lo
	s_cbranch_execz .LBB2_350
; %bb.348:
	s_mov_b32 s8, 0
.LBB2_349:                              ; =>This Inner Loop Header: Depth=1
	v_mov_b32_e32 v4, s0
	v_mov_b32_e32 v5, s1
	s_sleep 1
	global_store_dwordx2 v[0:1], v[6:7], off
	s_waitcnt_vscnt null, 0x0
	global_atomic_cmpswap_x2 v[4:5], v8, v[4:7], s[6:7] offset:24 glc
	s_waitcnt vmcnt(0)
	v_cmp_eq_u64_e32 vcc_lo, v[4:5], v[6:7]
	v_mov_b32_e32 v7, v5
	v_mov_b32_e32 v6, v4
	s_or_b32 s8, vcc_lo, s8
	s_andn2_b32 exec_lo, exec_lo, s8
	s_cbranch_execnz .LBB2_349
.LBB2_350:
	s_or_b32 exec_lo, exec_lo, s10
.LBB2_351:
	v_readfirstlane_b32 s0, v30
	s_waitcnt vmcnt(0)
	v_mov_b32_e32 v0, 0
	v_mov_b32_e32 v1, 0
	v_cmp_eq_u32_e64 s0, s0, v30
	s_and_saveexec_b32 s1, s0
	s_cbranch_execz .LBB2_357
; %bb.352:
	v_mov_b32_e32 v4, 0
	s_mov_b32 s8, exec_lo
	global_load_dwordx2 v[7:8], v4, s[6:7] offset:24 glc dlc
	s_waitcnt vmcnt(0)
	buffer_gl1_inv
	buffer_gl0_inv
	s_clause 0x1
	global_load_dwordx2 v[0:1], v4, s[6:7] offset:40
	global_load_dwordx2 v[5:6], v4, s[6:7]
	s_waitcnt vmcnt(1)
	v_and_b32_e32 v1, v1, v8
	v_and_b32_e32 v0, v0, v7
	v_mul_lo_u32 v1, v1, 24
	v_mul_hi_u32 v9, v0, 24
	v_mul_lo_u32 v0, v0, 24
	v_add_nc_u32_e32 v1, v9, v1
	s_waitcnt vmcnt(0)
	v_add_co_u32 v0, vcc_lo, v5, v0
	v_add_co_ci_u32_e64 v1, null, v6, v1, vcc_lo
	global_load_dwordx2 v[5:6], v[0:1], off glc dlc
	s_waitcnt vmcnt(0)
	global_atomic_cmpswap_x2 v[0:1], v4, v[5:8], s[6:7] offset:24 glc
	s_waitcnt vmcnt(0)
	buffer_gl1_inv
	buffer_gl0_inv
	v_cmpx_ne_u64_e64 v[0:1], v[7:8]
	s_cbranch_execz .LBB2_356
; %bb.353:
	s_mov_b32 s9, 0
	.p2align	6
.LBB2_354:                              ; =>This Inner Loop Header: Depth=1
	s_sleep 1
	s_clause 0x1
	global_load_dwordx2 v[5:6], v4, s[6:7] offset:40
	global_load_dwordx2 v[9:10], v4, s[6:7]
	v_mov_b32_e32 v8, v1
	v_mov_b32_e32 v7, v0
	s_waitcnt vmcnt(1)
	v_and_b32_e32 v0, v5, v7
	v_and_b32_e32 v5, v6, v8
	s_waitcnt vmcnt(0)
	v_mad_u64_u32 v[0:1], null, v0, 24, v[9:10]
	v_mad_u64_u32 v[5:6], null, v5, 24, v[1:2]
	v_mov_b32_e32 v1, v5
	global_load_dwordx2 v[5:6], v[0:1], off glc dlc
	s_waitcnt vmcnt(0)
	global_atomic_cmpswap_x2 v[0:1], v4, v[5:8], s[6:7] offset:24 glc
	s_waitcnt vmcnt(0)
	buffer_gl1_inv
	buffer_gl0_inv
	v_cmp_eq_u64_e32 vcc_lo, v[0:1], v[7:8]
	s_or_b32 s9, vcc_lo, s9
	s_andn2_b32 exec_lo, exec_lo, s9
	s_cbranch_execnz .LBB2_354
; %bb.355:
	s_or_b32 exec_lo, exec_lo, s9
.LBB2_356:
	s_or_b32 exec_lo, exec_lo, s8
.LBB2_357:
	s_or_b32 exec_lo, exec_lo, s1
	v_mov_b32_e32 v5, 0
	v_readfirstlane_b32 s9, v1
	v_readfirstlane_b32 s8, v0
	s_mov_b32 s1, exec_lo
	s_clause 0x1
	global_load_dwordx2 v[10:11], v5, s[6:7] offset:40
	global_load_dwordx4 v[6:9], v5, s[6:7]
	s_waitcnt vmcnt(1)
	v_readfirstlane_b32 s10, v10
	v_readfirstlane_b32 s11, v11
	s_and_b64 s[10:11], s[10:11], s[8:9]
	s_mul_i32 s12, s11, 24
	s_mul_hi_u32 s13, s10, 24
	s_mul_i32 s14, s10, 24
	s_add_i32 s13, s13, s12
	s_waitcnt vmcnt(0)
	v_add_co_u32 v10, vcc_lo, v6, s14
	v_add_co_ci_u32_e64 v11, null, s13, v7, vcc_lo
	s_and_saveexec_b32 s12, s0
	s_cbranch_execz .LBB2_359
; %bb.358:
	v_mov_b32_e32 v4, s1
	v_mov_b32_e32 v13, v5
	;; [unrolled: 1-line block ×5, first 2 shown]
	global_store_dwordx4 v[10:11], v[12:15], off offset:8
.LBB2_359:
	s_or_b32 exec_lo, exec_lo, s12
	s_lshl_b64 s[10:11], s[10:11], 12
	s_mov_b32 s12, 0
	v_add_co_u32 v0, vcc_lo, v8, s10
	v_add_co_ci_u32_e64 v1, null, s11, v9, vcc_lo
	s_lshr_b32 s1, s20, 1
	v_add_co_u32 v8, vcc_lo, v0, v28
	s_mov_b32 s13, s12
	s_mov_b32 s14, s12
	;; [unrolled: 1-line block ×3, first 2 shown]
	v_and_or_b32 v2, 0xffffff1f, v2, 32
	v_mov_b32_e32 v4, s1
	v_readfirstlane_b32 s10, v0
	v_readfirstlane_b32 s11, v1
	v_mov_b32_e32 v12, s12
	v_add_co_ci_u32_e64 v9, null, 0, v1, vcc_lo
	v_mov_b32_e32 v13, s13
	v_mov_b32_e32 v14, s14
	;; [unrolled: 1-line block ×3, first 2 shown]
	global_store_dwordx4 v28, v[2:5], s[10:11]
	global_store_dwordx4 v28, v[12:15], s[10:11] offset:16
	global_store_dwordx4 v28, v[12:15], s[10:11] offset:32
	;; [unrolled: 1-line block ×3, first 2 shown]
	s_and_saveexec_b32 s1, s0
	s_cbranch_execz .LBB2_367
; %bb.360:
	v_mov_b32_e32 v12, 0
	v_mov_b32_e32 v13, s8
	;; [unrolled: 1-line block ×3, first 2 shown]
	s_clause 0x1
	global_load_dwordx2 v[15:16], v12, s[6:7] offset:32 glc dlc
	global_load_dwordx2 v[0:1], v12, s[6:7] offset:40
	s_waitcnt vmcnt(0)
	v_readfirstlane_b32 s10, v0
	v_readfirstlane_b32 s11, v1
	s_and_b64 s[10:11], s[10:11], s[8:9]
	s_mul_i32 s11, s11, 24
	s_mul_hi_u32 s12, s10, 24
	s_mul_i32 s10, s10, 24
	s_add_i32 s12, s12, s11
	v_add_co_u32 v4, vcc_lo, v6, s10
	v_add_co_ci_u32_e64 v5, null, s12, v7, vcc_lo
	s_mov_b32 s10, exec_lo
	global_store_dwordx2 v[4:5], v[15:16], off
	s_waitcnt_vscnt null, 0x0
	global_atomic_cmpswap_x2 v[2:3], v12, v[13:16], s[6:7] offset:32 glc
	s_waitcnt vmcnt(0)
	v_cmpx_ne_u64_e64 v[2:3], v[15:16]
	s_cbranch_execz .LBB2_363
; %bb.361:
	s_mov_b32 s11, 0
.LBB2_362:                              ; =>This Inner Loop Header: Depth=1
	v_mov_b32_e32 v0, s8
	v_mov_b32_e32 v1, s9
	s_sleep 1
	global_store_dwordx2 v[4:5], v[2:3], off
	s_waitcnt_vscnt null, 0x0
	global_atomic_cmpswap_x2 v[0:1], v12, v[0:3], s[6:7] offset:32 glc
	s_waitcnt vmcnt(0)
	v_cmp_eq_u64_e32 vcc_lo, v[0:1], v[2:3]
	v_mov_b32_e32 v3, v1
	v_mov_b32_e32 v2, v0
	s_or_b32 s11, vcc_lo, s11
	s_andn2_b32 exec_lo, exec_lo, s11
	s_cbranch_execnz .LBB2_362
.LBB2_363:
	s_or_b32 exec_lo, exec_lo, s10
	v_mov_b32_e32 v3, 0
	s_mov_b32 s11, exec_lo
	s_mov_b32 s10, exec_lo
	v_mbcnt_lo_u32_b32 v2, s11, 0
	global_load_dwordx2 v[0:1], v3, s[6:7] offset:16
	v_cmpx_eq_u32_e32 0, v2
	s_cbranch_execz .LBB2_365
; %bb.364:
	s_bcnt1_i32_b32 s11, s11
	v_mov_b32_e32 v2, s11
	s_waitcnt vmcnt(0)
	global_atomic_add_x2 v[0:1], v[2:3], off offset:8
.LBB2_365:
	s_or_b32 exec_lo, exec_lo, s10
	s_waitcnt vmcnt(0)
	global_load_dwordx2 v[2:3], v[0:1], off offset:16
	s_waitcnt vmcnt(0)
	v_cmp_eq_u64_e32 vcc_lo, 0, v[2:3]
	s_cbranch_vccnz .LBB2_367
; %bb.366:
	global_load_dword v0, v[0:1], off offset:24
	v_mov_b32_e32 v1, 0
	s_waitcnt vmcnt(0)
	v_readfirstlane_b32 s10, v0
	s_waitcnt_vscnt null, 0x0
	global_store_dwordx2 v[2:3], v[0:1], off
	s_and_b32 m0, s10, 0x7fffff
	s_sendmsg sendmsg(MSG_INTERRUPT)
.LBB2_367:
	s_or_b32 exec_lo, exec_lo, s1
	s_branch .LBB2_371
	.p2align	6
.LBB2_368:                              ;   in Loop: Header=BB2_371 Depth=1
	s_or_b32 exec_lo, exec_lo, s1
	v_readfirstlane_b32 s1, v0
	s_cmp_eq_u32 s1, 0
	s_cbranch_scc1 .LBB2_370
; %bb.369:                              ;   in Loop: Header=BB2_371 Depth=1
	s_sleep 1
	s_cbranch_execnz .LBB2_371
	s_branch .LBB2_373
	.p2align	6
.LBB2_370:
	s_branch .LBB2_373
.LBB2_371:                              ; =>This Inner Loop Header: Depth=1
	v_mov_b32_e32 v0, 1
	s_and_saveexec_b32 s1, s0
	s_cbranch_execz .LBB2_368
; %bb.372:                              ;   in Loop: Header=BB2_371 Depth=1
	global_load_dword v0, v[10:11], off offset:20 glc dlc
	s_waitcnt vmcnt(0)
	buffer_gl1_inv
	buffer_gl0_inv
	v_and_b32_e32 v0, 1, v0
	s_branch .LBB2_368
.LBB2_373:
	global_load_dwordx2 v[0:1], v[8:9], off
	s_and_saveexec_b32 s10, s0
	s_cbranch_execz .LBB2_377
; %bb.374:
	v_mov_b32_e32 v8, 0
	s_clause 0x2
	global_load_dwordx2 v[2:3], v8, s[6:7] offset:40
	global_load_dwordx2 v[11:12], v8, s[6:7] offset:24 glc dlc
	global_load_dwordx2 v[4:5], v8, s[6:7]
	s_waitcnt vmcnt(2)
	v_readfirstlane_b32 s12, v2
	v_readfirstlane_b32 s13, v3
	s_add_u32 s11, s12, 1
	s_addc_u32 s14, s13, 0
	s_add_u32 s0, s11, s8
	s_addc_u32 s1, s14, s9
	s_cmp_eq_u64 s[0:1], 0
	s_cselect_b32 s1, s14, s1
	s_cselect_b32 s0, s11, s0
	v_mov_b32_e32 v10, s1
	s_and_b64 s[8:9], s[0:1], s[12:13]
	v_mov_b32_e32 v9, s0
	s_mul_i32 s9, s9, 24
	s_mul_hi_u32 s11, s8, 24
	s_mul_i32 s8, s8, 24
	s_add_i32 s11, s11, s9
	s_waitcnt vmcnt(0)
	v_add_co_u32 v6, vcc_lo, v4, s8
	v_add_co_ci_u32_e64 v7, null, s11, v5, vcc_lo
	global_store_dwordx2 v[6:7], v[11:12], off
	s_waitcnt_vscnt null, 0x0
	global_atomic_cmpswap_x2 v[4:5], v8, v[9:12], s[6:7] offset:24 glc
	s_waitcnt vmcnt(0)
	v_cmp_ne_u64_e32 vcc_lo, v[4:5], v[11:12]
	s_and_b32 exec_lo, exec_lo, vcc_lo
	s_cbranch_execz .LBB2_377
; %bb.375:
	s_mov_b32 s8, 0
.LBB2_376:                              ; =>This Inner Loop Header: Depth=1
	v_mov_b32_e32 v2, s0
	v_mov_b32_e32 v3, s1
	s_sleep 1
	global_store_dwordx2 v[6:7], v[4:5], off
	s_waitcnt_vscnt null, 0x0
	global_atomic_cmpswap_x2 v[2:3], v8, v[2:5], s[6:7] offset:24 glc
	s_waitcnt vmcnt(0)
	v_cmp_eq_u64_e32 vcc_lo, v[2:3], v[4:5]
	v_mov_b32_e32 v5, v3
	v_mov_b32_e32 v4, v2
	s_or_b32 s8, vcc_lo, s8
	s_andn2_b32 exec_lo, exec_lo, s8
	s_cbranch_execnz .LBB2_376
.LBB2_377:
	s_or_b32 exec_lo, exec_lo, s10
	v_readfirstlane_b32 s0, v30
	v_mov_b32_e32 v8, 0
	v_mov_b32_e32 v9, 0
	v_cmp_eq_u32_e64 s0, s0, v30
	s_and_saveexec_b32 s1, s0
	s_cbranch_execz .LBB2_383
; %bb.378:
	v_mov_b32_e32 v2, 0
	s_mov_b32 s8, exec_lo
	global_load_dwordx2 v[5:6], v2, s[6:7] offset:24 glc dlc
	s_waitcnt vmcnt(0)
	buffer_gl1_inv
	buffer_gl0_inv
	s_clause 0x1
	global_load_dwordx2 v[3:4], v2, s[6:7] offset:40
	global_load_dwordx2 v[7:8], v2, s[6:7]
	s_waitcnt vmcnt(1)
	v_and_b32_e32 v4, v4, v6
	v_and_b32_e32 v3, v3, v5
	v_mul_lo_u32 v4, v4, 24
	v_mul_hi_u32 v9, v3, 24
	v_mul_lo_u32 v3, v3, 24
	v_add_nc_u32_e32 v4, v9, v4
	s_waitcnt vmcnt(0)
	v_add_co_u32 v3, vcc_lo, v7, v3
	v_add_co_ci_u32_e64 v4, null, v8, v4, vcc_lo
	global_load_dwordx2 v[3:4], v[3:4], off glc dlc
	s_waitcnt vmcnt(0)
	global_atomic_cmpswap_x2 v[8:9], v2, v[3:6], s[6:7] offset:24 glc
	s_waitcnt vmcnt(0)
	buffer_gl1_inv
	buffer_gl0_inv
	v_cmpx_ne_u64_e64 v[8:9], v[5:6]
	s_cbranch_execz .LBB2_382
; %bb.379:
	s_mov_b32 s9, 0
	.p2align	6
.LBB2_380:                              ; =>This Inner Loop Header: Depth=1
	s_sleep 1
	s_clause 0x1
	global_load_dwordx2 v[3:4], v2, s[6:7] offset:40
	global_load_dwordx2 v[10:11], v2, s[6:7]
	v_mov_b32_e32 v5, v8
	v_mov_b32_e32 v6, v9
	s_waitcnt vmcnt(1)
	v_and_b32_e32 v3, v3, v5
	v_and_b32_e32 v4, v4, v6
	s_waitcnt vmcnt(0)
	v_mad_u64_u32 v[7:8], null, v3, 24, v[10:11]
	v_mov_b32_e32 v3, v8
	v_mad_u64_u32 v[3:4], null, v4, 24, v[3:4]
	v_mov_b32_e32 v8, v3
	global_load_dwordx2 v[3:4], v[7:8], off glc dlc
	s_waitcnt vmcnt(0)
	global_atomic_cmpswap_x2 v[8:9], v2, v[3:6], s[6:7] offset:24 glc
	s_waitcnt vmcnt(0)
	buffer_gl1_inv
	buffer_gl0_inv
	v_cmp_eq_u64_e32 vcc_lo, v[8:9], v[5:6]
	s_or_b32 s9, vcc_lo, s9
	s_andn2_b32 exec_lo, exec_lo, s9
	s_cbranch_execnz .LBB2_380
; %bb.381:
	s_or_b32 exec_lo, exec_lo, s9
.LBB2_382:
	s_or_b32 exec_lo, exec_lo, s8
.LBB2_383:
	s_or_b32 exec_lo, exec_lo, s1
	v_mov_b32_e32 v3, 0
	v_readfirstlane_b32 s9, v9
	v_readfirstlane_b32 s8, v8
	s_mov_b32 s1, exec_lo
	s_clause 0x1
	global_load_dwordx2 v[10:11], v3, s[6:7] offset:40
	global_load_dwordx4 v[4:7], v3, s[6:7]
	s_waitcnt vmcnt(1)
	v_readfirstlane_b32 s10, v10
	v_readfirstlane_b32 s11, v11
	s_and_b64 s[10:11], s[10:11], s[8:9]
	s_mul_i32 s12, s11, 24
	s_mul_hi_u32 s13, s10, 24
	s_mul_i32 s14, s10, 24
	s_add_i32 s13, s13, s12
	s_waitcnt vmcnt(0)
	v_add_co_u32 v8, vcc_lo, v4, s14
	v_add_co_ci_u32_e64 v9, null, s13, v5, vcc_lo
	s_and_saveexec_b32 s12, s0
	s_cbranch_execz .LBB2_385
; %bb.384:
	v_mov_b32_e32 v2, s1
	v_mov_b32_e32 v11, v3
	;; [unrolled: 1-line block ×5, first 2 shown]
	global_store_dwordx4 v[8:9], v[10:13], off offset:8
.LBB2_385:
	s_or_b32 exec_lo, exec_lo, s12
	s_lshl_b64 s[10:11], s[10:11], 12
	s_mov_b32 s12, 0
	v_add_co_u32 v6, vcc_lo, v6, s10
	v_add_co_ci_u32_e64 v7, null, s11, v7, vcc_lo
	s_mov_b32 s13, s12
	s_mov_b32 s14, s12
	;; [unrolled: 1-line block ×3, first 2 shown]
	v_and_or_b32 v0, 0xffffff1d, v0, 34
	v_mov_b32_e32 v2, 2
	v_readfirstlane_b32 s10, v6
	v_readfirstlane_b32 s11, v7
	v_mov_b32_e32 v10, s12
	v_mov_b32_e32 v11, s13
	v_mov_b32_e32 v12, s14
	v_mov_b32_e32 v13, s15
	global_store_dwordx4 v28, v[0:3], s[10:11]
	global_store_dwordx4 v28, v[10:13], s[10:11] offset:16
	global_store_dwordx4 v28, v[10:13], s[10:11] offset:32
	;; [unrolled: 1-line block ×3, first 2 shown]
	s_and_saveexec_b32 s1, s0
	s_cbranch_execz .LBB2_393
; %bb.386:
	v_mov_b32_e32 v6, 0
	v_mov_b32_e32 v10, s8
	;; [unrolled: 1-line block ×3, first 2 shown]
	s_clause 0x1
	global_load_dwordx2 v[12:13], v6, s[6:7] offset:32 glc dlc
	global_load_dwordx2 v[0:1], v6, s[6:7] offset:40
	s_waitcnt vmcnt(0)
	v_readfirstlane_b32 s10, v0
	v_readfirstlane_b32 s11, v1
	s_and_b64 s[10:11], s[10:11], s[8:9]
	s_mul_i32 s11, s11, 24
	s_mul_hi_u32 s12, s10, 24
	s_mul_i32 s10, s10, 24
	s_add_i32 s12, s12, s11
	v_add_co_u32 v4, vcc_lo, v4, s10
	v_add_co_ci_u32_e64 v5, null, s12, v5, vcc_lo
	s_mov_b32 s10, exec_lo
	global_store_dwordx2 v[4:5], v[12:13], off
	s_waitcnt_vscnt null, 0x0
	global_atomic_cmpswap_x2 v[2:3], v6, v[10:13], s[6:7] offset:32 glc
	s_waitcnt vmcnt(0)
	v_cmpx_ne_u64_e64 v[2:3], v[12:13]
	s_cbranch_execz .LBB2_389
; %bb.387:
	s_mov_b32 s11, 0
.LBB2_388:                              ; =>This Inner Loop Header: Depth=1
	v_mov_b32_e32 v0, s8
	v_mov_b32_e32 v1, s9
	s_sleep 1
	global_store_dwordx2 v[4:5], v[2:3], off
	s_waitcnt_vscnt null, 0x0
	global_atomic_cmpswap_x2 v[0:1], v6, v[0:3], s[6:7] offset:32 glc
	s_waitcnt vmcnt(0)
	v_cmp_eq_u64_e32 vcc_lo, v[0:1], v[2:3]
	v_mov_b32_e32 v3, v1
	v_mov_b32_e32 v2, v0
	s_or_b32 s11, vcc_lo, s11
	s_andn2_b32 exec_lo, exec_lo, s11
	s_cbranch_execnz .LBB2_388
.LBB2_389:
	s_or_b32 exec_lo, exec_lo, s10
	v_mov_b32_e32 v3, 0
	s_mov_b32 s11, exec_lo
	s_mov_b32 s10, exec_lo
	v_mbcnt_lo_u32_b32 v2, s11, 0
	global_load_dwordx2 v[0:1], v3, s[6:7] offset:16
	v_cmpx_eq_u32_e32 0, v2
	s_cbranch_execz .LBB2_391
; %bb.390:
	s_bcnt1_i32_b32 s11, s11
	v_mov_b32_e32 v2, s11
	s_waitcnt vmcnt(0)
	global_atomic_add_x2 v[0:1], v[2:3], off offset:8
.LBB2_391:
	s_or_b32 exec_lo, exec_lo, s10
	s_waitcnt vmcnt(0)
	global_load_dwordx2 v[2:3], v[0:1], off offset:16
	s_waitcnt vmcnt(0)
	v_cmp_eq_u64_e32 vcc_lo, 0, v[2:3]
	s_cbranch_vccnz .LBB2_393
; %bb.392:
	global_load_dword v0, v[0:1], off offset:24
	v_mov_b32_e32 v1, 0
	s_waitcnt vmcnt(0)
	v_readfirstlane_b32 s10, v0
	s_waitcnt_vscnt null, 0x0
	global_store_dwordx2 v[2:3], v[0:1], off
	s_and_b32 m0, s10, 0x7fffff
	s_sendmsg sendmsg(MSG_INTERRUPT)
.LBB2_393:
	s_or_b32 exec_lo, exec_lo, s1
	s_branch .LBB2_397
	.p2align	6
.LBB2_394:                              ;   in Loop: Header=BB2_397 Depth=1
	s_or_b32 exec_lo, exec_lo, s1
	v_readfirstlane_b32 s1, v0
	s_cmp_eq_u32 s1, 0
	s_cbranch_scc1 .LBB2_396
; %bb.395:                              ;   in Loop: Header=BB2_397 Depth=1
	s_sleep 1
	s_cbranch_execnz .LBB2_397
	s_branch .LBB2_399
	.p2align	6
.LBB2_396:
	s_branch .LBB2_399
.LBB2_397:                              ; =>This Inner Loop Header: Depth=1
	v_mov_b32_e32 v0, 1
	s_and_saveexec_b32 s1, s0
	s_cbranch_execz .LBB2_394
; %bb.398:                              ;   in Loop: Header=BB2_397 Depth=1
	global_load_dword v0, v[8:9], off offset:20 glc dlc
	s_waitcnt vmcnt(0)
	buffer_gl1_inv
	buffer_gl0_inv
	v_and_b32_e32 v0, 1, v0
	s_branch .LBB2_394
.LBB2_399:
	s_and_b32 exec_lo, exec_lo, s0
	s_cbranch_execz .LBB2_403
; %bb.400:
	v_mov_b32_e32 v6, 0
	s_clause 0x2
	global_load_dwordx2 v[0:1], v6, s[6:7] offset:40
	global_load_dwordx2 v[9:10], v6, s[6:7] offset:24 glc dlc
	global_load_dwordx2 v[2:3], v6, s[6:7]
	s_waitcnt vmcnt(2)
	v_readfirstlane_b32 s10, v0
	v_readfirstlane_b32 s11, v1
	s_add_u32 s12, s10, 1
	s_addc_u32 s13, s11, 0
	s_add_u32 s0, s12, s8
	s_addc_u32 s1, s13, s9
	s_cmp_eq_u64 s[0:1], 0
	s_cselect_b32 s1, s13, s1
	s_cselect_b32 s0, s12, s0
	v_mov_b32_e32 v8, s1
	s_and_b64 s[8:9], s[0:1], s[10:11]
	v_mov_b32_e32 v7, s0
	s_mul_i32 s9, s9, 24
	s_mul_hi_u32 s10, s8, 24
	s_mul_i32 s8, s8, 24
	s_add_i32 s10, s10, s9
	s_waitcnt vmcnt(0)
	v_add_co_u32 v4, vcc_lo, v2, s8
	v_add_co_ci_u32_e64 v5, null, s10, v3, vcc_lo
	global_store_dwordx2 v[4:5], v[9:10], off
	s_waitcnt_vscnt null, 0x0
	global_atomic_cmpswap_x2 v[2:3], v6, v[7:10], s[6:7] offset:24 glc
	s_waitcnt vmcnt(0)
	v_cmp_ne_u64_e32 vcc_lo, v[2:3], v[9:10]
	s_and_b32 exec_lo, exec_lo, vcc_lo
	s_cbranch_execz .LBB2_403
; %bb.401:
	s_mov_b32 s8, 0
.LBB2_402:                              ; =>This Inner Loop Header: Depth=1
	v_mov_b32_e32 v0, s0
	v_mov_b32_e32 v1, s1
	s_sleep 1
	global_store_dwordx2 v[4:5], v[2:3], off
	s_waitcnt_vscnt null, 0x0
	global_atomic_cmpswap_x2 v[0:1], v6, v[0:3], s[6:7] offset:24 glc
	s_waitcnt vmcnt(0)
	v_cmp_eq_u64_e32 vcc_lo, v[0:1], v[2:3]
	v_mov_b32_e32 v3, v1
	v_mov_b32_e32 v2, v0
	s_or_b32 s8, vcc_lo, s8
	s_andn2_b32 exec_lo, exec_lo, s8
	s_cbranch_execnz .LBB2_402
.LBB2_403:
	s_or_b32 exec_lo, exec_lo, s23
	v_and_b32_e32 v0, -2, v29
	v_and_b32_e32 v5, 1, v29
	s_waitcnt lgkmcnt(0)
	s_waitcnt_vscnt null, 0x0
	s_barrier
	buffer_gl0_inv
	v_ashrrev_i32_e32 v1, 31, v0
	v_lshlrev_b32_e32 v2, 2, v5
	v_lshlrev_b64 v[0:1], 2, v[0:1]
	v_add_co_u32 v0, vcc_lo, s22, v0
	v_add_co_ci_u32_e64 v1, null, s21, v1, vcc_lo
	v_add_co_u32 v3, vcc_lo, v0, v2
	v_add_co_ci_u32_e64 v4, null, 0, v1, vcc_lo
	v_mov_b32_e32 v2, -1
	v_cmp_eq_u32_e32 vcc_lo, 0, v5
	flat_store_dword v[3:4], v29
	s_waitcnt lgkmcnt(0)
	s_waitcnt_vscnt null, 0x0
	buffer_gl1_inv
	buffer_gl0_inv
	s_and_saveexec_b32 s0, vcc_lo
	s_cbranch_execnz .LBB2_406
; %bb.404:
	s_or_b32 exec_lo, exec_lo, s0
	buffer_gl1_inv
	buffer_gl0_inv
	s_and_saveexec_b32 s0, vcc_lo
	s_cbranch_execnz .LBB2_407
.LBB2_405:
	s_endpgm
.LBB2_406:
	flat_load_dword v0, v[0:1] offset:4
	s_waitcnt vmcnt(0) lgkmcnt(0)
	v_add_nc_u32_e32 v2, v0, v29
	s_or_b32 exec_lo, exec_lo, s0
	buffer_gl1_inv
	buffer_gl0_inv
	s_and_saveexec_b32 s0, vcc_lo
	s_cbranch_execz .LBB2_405
.LBB2_407:
	s_load_dwordx2 s[2:3], s[2:3], 0x50
	v_mbcnt_lo_u32_b32 v31, -1, 0
	v_mov_b32_e32 v0, 0
	v_mov_b32_e32 v1, 0
	v_readfirstlane_b32 s0, v31
	v_cmp_eq_u32_e64 s0, s0, v31
	s_and_saveexec_b32 s1, s0
	s_cbranch_execz .LBB2_413
; %bb.408:
	v_mov_b32_e32 v3, 0
	s_mov_b32 s6, exec_lo
	s_waitcnt lgkmcnt(0)
	global_load_dwordx2 v[6:7], v3, s[2:3] offset:24 glc dlc
	s_waitcnt vmcnt(0)
	buffer_gl1_inv
	buffer_gl0_inv
	s_clause 0x1
	global_load_dwordx2 v[0:1], v3, s[2:3] offset:40
	global_load_dwordx2 v[4:5], v3, s[2:3]
	s_waitcnt vmcnt(1)
	v_and_b32_e32 v1, v1, v7
	v_and_b32_e32 v0, v0, v6
	v_mul_lo_u32 v1, v1, 24
	v_mul_hi_u32 v8, v0, 24
	v_mul_lo_u32 v0, v0, 24
	v_add_nc_u32_e32 v1, v8, v1
	s_waitcnt vmcnt(0)
	v_add_co_u32 v0, vcc_lo, v4, v0
	v_add_co_ci_u32_e64 v1, null, v5, v1, vcc_lo
	global_load_dwordx2 v[4:5], v[0:1], off glc dlc
	s_waitcnt vmcnt(0)
	global_atomic_cmpswap_x2 v[0:1], v3, v[4:7], s[2:3] offset:24 glc
	s_waitcnt vmcnt(0)
	buffer_gl1_inv
	buffer_gl0_inv
	v_cmpx_ne_u64_e64 v[0:1], v[6:7]
	s_cbranch_execz .LBB2_412
; %bb.409:
	s_mov_b32 s7, 0
	.p2align	6
.LBB2_410:                              ; =>This Inner Loop Header: Depth=1
	s_sleep 1
	s_clause 0x1
	global_load_dwordx2 v[4:5], v3, s[2:3] offset:40
	global_load_dwordx2 v[8:9], v3, s[2:3]
	v_mov_b32_e32 v7, v1
	v_mov_b32_e32 v6, v0
	s_waitcnt vmcnt(1)
	v_and_b32_e32 v0, v4, v6
	v_and_b32_e32 v4, v5, v7
	s_waitcnt vmcnt(0)
	v_mad_u64_u32 v[0:1], null, v0, 24, v[8:9]
	v_mad_u64_u32 v[4:5], null, v4, 24, v[1:2]
	v_mov_b32_e32 v1, v4
	global_load_dwordx2 v[4:5], v[0:1], off glc dlc
	s_waitcnt vmcnt(0)
	global_atomic_cmpswap_x2 v[0:1], v3, v[4:7], s[2:3] offset:24 glc
	s_waitcnt vmcnt(0)
	buffer_gl1_inv
	buffer_gl0_inv
	v_cmp_eq_u64_e32 vcc_lo, v[0:1], v[6:7]
	s_or_b32 s7, vcc_lo, s7
	s_andn2_b32 exec_lo, exec_lo, s7
	s_cbranch_execnz .LBB2_410
; %bb.411:
	s_or_b32 exec_lo, exec_lo, s7
.LBB2_412:
	s_or_b32 exec_lo, exec_lo, s6
.LBB2_413:
	s_or_b32 exec_lo, exec_lo, s1
	v_mov_b32_e32 v8, 0
	v_readfirstlane_b32 s7, v1
	v_readfirstlane_b32 s6, v0
	s_mov_b32 s1, exec_lo
	s_waitcnt lgkmcnt(0)
	s_clause 0x1
	global_load_dwordx2 v[9:10], v8, s[2:3] offset:40
	global_load_dwordx4 v[3:6], v8, s[2:3]
	s_waitcnt vmcnt(1)
	v_readfirstlane_b32 s8, v9
	v_readfirstlane_b32 s9, v10
	s_and_b64 s[8:9], s[8:9], s[6:7]
	s_mul_i32 s10, s9, 24
	s_mul_hi_u32 s11, s8, 24
	s_mul_i32 s12, s8, 24
	s_add_i32 s11, s11, s10
	s_waitcnt vmcnt(0)
	v_add_co_u32 v0, vcc_lo, v3, s12
	v_add_co_ci_u32_e64 v1, null, s11, v4, vcc_lo
	s_and_saveexec_b32 s10, s0
	s_cbranch_execz .LBB2_415
; %bb.414:
	v_mov_b32_e32 v7, s1
	v_mov_b32_e32 v9, 2
	;; [unrolled: 1-line block ×3, first 2 shown]
	global_store_dwordx4 v[0:1], v[7:10], off offset:8
.LBB2_415:
	s_or_b32 exec_lo, exec_lo, s10
	s_lshl_b64 s[8:9], s[8:9], 12
	v_lshlrev_b32_e32 v30, 6, v31
	v_add_co_u32 v5, vcc_lo, v5, s8
	v_add_co_ci_u32_e64 v6, null, s9, v6, vcc_lo
	s_mov_b32 s8, 0
	v_add_co_u32 v11, vcc_lo, v5, v30
	s_mov_b32 s11, s8
	s_mov_b32 s9, s8
	;; [unrolled: 1-line block ×3, first 2 shown]
	v_mov_b32_e32 v7, 33
	v_mov_b32_e32 v9, v8
	;; [unrolled: 1-line block ×3, first 2 shown]
	v_readfirstlane_b32 s12, v5
	v_readfirstlane_b32 s13, v6
	v_mov_b32_e32 v16, s11
	v_add_co_ci_u32_e64 v12, null, 0, v6, vcc_lo
	v_mov_b32_e32 v15, s10
	v_mov_b32_e32 v14, s9
	;; [unrolled: 1-line block ×3, first 2 shown]
	global_store_dwordx4 v30, v[7:10], s[12:13]
	global_store_dwordx4 v30, v[13:16], s[12:13] offset:16
	global_store_dwordx4 v30, v[13:16], s[12:13] offset:32
	;; [unrolled: 1-line block ×3, first 2 shown]
	s_and_saveexec_b32 s1, s0
	s_cbranch_execz .LBB2_423
; %bb.416:
	v_mov_b32_e32 v9, 0
	v_mov_b32_e32 v13, s6
	;; [unrolled: 1-line block ×3, first 2 shown]
	s_mov_b32 s8, exec_lo
	s_clause 0x1
	global_load_dwordx2 v[15:16], v9, s[2:3] offset:32 glc dlc
	global_load_dwordx2 v[5:6], v9, s[2:3] offset:40
	s_waitcnt vmcnt(0)
	v_and_b32_e32 v6, s7, v6
	v_and_b32_e32 v5, s6, v5
	v_mul_lo_u32 v6, v6, 24
	v_mul_hi_u32 v7, v5, 24
	v_mul_lo_u32 v5, v5, 24
	v_add_nc_u32_e32 v6, v7, v6
	v_add_co_u32 v7, vcc_lo, v3, v5
	v_add_co_ci_u32_e64 v8, null, v4, v6, vcc_lo
	global_store_dwordx2 v[7:8], v[15:16], off
	s_waitcnt_vscnt null, 0x0
	global_atomic_cmpswap_x2 v[5:6], v9, v[13:16], s[2:3] offset:32 glc
	s_waitcnt vmcnt(0)
	v_cmpx_ne_u64_e64 v[5:6], v[15:16]
	s_cbranch_execz .LBB2_419
; %bb.417:
	s_mov_b32 s9, 0
.LBB2_418:                              ; =>This Inner Loop Header: Depth=1
	v_mov_b32_e32 v3, s6
	v_mov_b32_e32 v4, s7
	s_sleep 1
	global_store_dwordx2 v[7:8], v[5:6], off
	s_waitcnt_vscnt null, 0x0
	global_atomic_cmpswap_x2 v[3:4], v9, v[3:6], s[2:3] offset:32 glc
	s_waitcnt vmcnt(0)
	v_cmp_eq_u64_e32 vcc_lo, v[3:4], v[5:6]
	v_mov_b32_e32 v6, v4
	v_mov_b32_e32 v5, v3
	s_or_b32 s9, vcc_lo, s9
	s_andn2_b32 exec_lo, exec_lo, s9
	s_cbranch_execnz .LBB2_418
.LBB2_419:
	s_or_b32 exec_lo, exec_lo, s8
	v_mov_b32_e32 v6, 0
	s_mov_b32 s9, exec_lo
	s_mov_b32 s8, exec_lo
	v_mbcnt_lo_u32_b32 v5, s9, 0
	global_load_dwordx2 v[3:4], v6, s[2:3] offset:16
	v_cmpx_eq_u32_e32 0, v5
	s_cbranch_execz .LBB2_421
; %bb.420:
	s_bcnt1_i32_b32 s9, s9
	v_mov_b32_e32 v5, s9
	s_waitcnt vmcnt(0)
	global_atomic_add_x2 v[3:4], v[5:6], off offset:8
.LBB2_421:
	s_or_b32 exec_lo, exec_lo, s8
	s_waitcnt vmcnt(0)
	global_load_dwordx2 v[5:6], v[3:4], off offset:16
	s_waitcnt vmcnt(0)
	v_cmp_eq_u64_e32 vcc_lo, 0, v[5:6]
	s_cbranch_vccnz .LBB2_423
; %bb.422:
	global_load_dword v3, v[3:4], off offset:24
	v_mov_b32_e32 v4, 0
	s_waitcnt vmcnt(0)
	v_readfirstlane_b32 s8, v3
	s_waitcnt_vscnt null, 0x0
	global_store_dwordx2 v[5:6], v[3:4], off
	s_and_b32 m0, s8, 0x7fffff
	s_sendmsg sendmsg(MSG_INTERRUPT)
.LBB2_423:
	s_or_b32 exec_lo, exec_lo, s1
	s_branch .LBB2_427
	.p2align	6
.LBB2_424:                              ;   in Loop: Header=BB2_427 Depth=1
	s_or_b32 exec_lo, exec_lo, s1
	v_readfirstlane_b32 s1, v3
	s_cmp_eq_u32 s1, 0
	s_cbranch_scc1 .LBB2_426
; %bb.425:                              ;   in Loop: Header=BB2_427 Depth=1
	s_sleep 1
	s_cbranch_execnz .LBB2_427
	s_branch .LBB2_429
	.p2align	6
.LBB2_426:
	s_branch .LBB2_429
.LBB2_427:                              ; =>This Inner Loop Header: Depth=1
	v_mov_b32_e32 v3, 1
	s_and_saveexec_b32 s1, s0
	s_cbranch_execz .LBB2_424
; %bb.428:                              ;   in Loop: Header=BB2_427 Depth=1
	global_load_dword v3, v[0:1], off offset:20 glc dlc
	s_waitcnt vmcnt(0)
	buffer_gl1_inv
	buffer_gl0_inv
	v_and_b32_e32 v3, 1, v3
	s_branch .LBB2_424
.LBB2_429:
	global_load_dwordx2 v[3:4], v[11:12], off
	s_and_saveexec_b32 s8, s0
	s_cbranch_execz .LBB2_433
; %bb.430:
	v_mov_b32_e32 v9, 0
	s_clause 0x2
	global_load_dwordx2 v[0:1], v9, s[2:3] offset:40
	global_load_dwordx2 v[12:13], v9, s[2:3] offset:24 glc dlc
	global_load_dwordx2 v[5:6], v9, s[2:3]
	s_waitcnt vmcnt(2)
	v_readfirstlane_b32 s10, v0
	v_readfirstlane_b32 s11, v1
	s_add_u32 s9, s10, 1
	s_addc_u32 s12, s11, 0
	s_add_u32 s0, s9, s6
	s_addc_u32 s1, s12, s7
	s_cmp_eq_u64 s[0:1], 0
	s_cselect_b32 s1, s12, s1
	s_cselect_b32 s0, s9, s0
	v_mov_b32_e32 v11, s1
	s_and_b64 s[6:7], s[0:1], s[10:11]
	v_mov_b32_e32 v10, s0
	s_mul_i32 s7, s7, 24
	s_mul_hi_u32 s9, s6, 24
	s_mul_i32 s6, s6, 24
	s_add_i32 s9, s9, s7
	s_waitcnt vmcnt(0)
	v_add_co_u32 v0, vcc_lo, v5, s6
	v_add_co_ci_u32_e64 v1, null, s9, v6, vcc_lo
	global_store_dwordx2 v[0:1], v[12:13], off
	s_waitcnt_vscnt null, 0x0
	global_atomic_cmpswap_x2 v[7:8], v9, v[10:13], s[2:3] offset:24 glc
	s_waitcnt vmcnt(0)
	v_cmp_ne_u64_e32 vcc_lo, v[7:8], v[12:13]
	s_and_b32 exec_lo, exec_lo, vcc_lo
	s_cbranch_execz .LBB2_433
; %bb.431:
	s_mov_b32 s6, 0
.LBB2_432:                              ; =>This Inner Loop Header: Depth=1
	v_mov_b32_e32 v5, s0
	v_mov_b32_e32 v6, s1
	s_sleep 1
	global_store_dwordx2 v[0:1], v[7:8], off
	s_waitcnt_vscnt null, 0x0
	global_atomic_cmpswap_x2 v[5:6], v9, v[5:8], s[2:3] offset:24 glc
	s_waitcnt vmcnt(0)
	v_cmp_eq_u64_e32 vcc_lo, v[5:6], v[7:8]
	v_mov_b32_e32 v8, v6
	v_mov_b32_e32 v7, v5
	s_or_b32 s6, vcc_lo, s6
	s_andn2_b32 exec_lo, exec_lo, s6
	s_cbranch_execnz .LBB2_432
.LBB2_433:
	s_or_b32 exec_lo, exec_lo, s8
	s_getpc_b64 s[0:1]
	s_add_u32 s0, s0, .str.9@rel32@lo+4
	s_addc_u32 s1, s1, .str.9@rel32@hi+12
	s_mov_b64 s[6:7], 0
	s_cmp_lg_u64 s[0:1], 0
	s_cselect_b32 s8, -1, 0
	s_cmp_eq_u64 s[0:1], 0
	s_cbranch_scc1 .LBB2_437
; %bb.434:
	v_mov_b32_e32 v0, 0
	s_getpc_b64 s[0:1]
	s_add_u32 s0, s0, .str.9@rel32@lo+3
	s_addc_u32 s1, s1, .str.9@rel32@hi+11
.LBB2_435:                              ; =>This Inner Loop Header: Depth=1
	global_load_ubyte v1, v0, s[0:1] offset:1
	s_add_u32 s6, s0, 1
	s_addc_u32 s7, s1, 0
	s_mov_b64 s[0:1], s[6:7]
	s_waitcnt vmcnt(0)
	v_cmp_ne_u32_e32 vcc_lo, 0, v1
	s_cbranch_vccnz .LBB2_435
; %bb.436:
	s_getpc_b64 s[0:1]
	s_add_u32 s0, s0, .str.9@rel32@lo+4
	s_addc_u32 s1, s1, .str.9@rel32@hi+12
	s_sub_u32 s0, s6, s0
	s_subb_u32 s1, s7, s1
	s_add_u32 s6, s0, 1
	s_addc_u32 s7, s1, 0
.LBB2_437:
	s_and_b32 vcc_lo, exec_lo, s8
	s_cbranch_vccz .LBB2_516
; %bb.438:
	s_waitcnt vmcnt(0)
	v_and_b32_e32 v32, 2, v3
	v_mov_b32_e32 v10, 0
	v_and_b32_e32 v5, -3, v3
	v_mov_b32_e32 v6, v4
	v_mov_b32_e32 v11, 2
	;; [unrolled: 1-line block ×3, first 2 shown]
	s_getpc_b64 s[8:9]
	s_add_u32 s8, s8, .str.9@rel32@lo+4
	s_addc_u32 s9, s9, .str.9@rel32@hi+12
	s_branch .LBB2_440
.LBB2_439:                              ;   in Loop: Header=BB2_440 Depth=1
	s_or_b32 exec_lo, exec_lo, s14
	s_sub_u32 s6, s6, s10
	s_subb_u32 s7, s7, s11
	s_add_u32 s8, s8, s10
	s_addc_u32 s9, s9, s11
	s_cmp_lg_u64 s[6:7], 0
	s_cbranch_scc0 .LBB2_515
.LBB2_440:                              ; =>This Loop Header: Depth=1
                                        ;     Child Loop BB2_443 Depth 2
                                        ;     Child Loop BB2_450 Depth 2
	;; [unrolled: 1-line block ×11, first 2 shown]
	v_cmp_lt_u64_e64 s0, s[6:7], 56
	v_cmp_gt_u64_e64 s12, s[6:7], 7
	s_and_b32 s0, s0, exec_lo
	s_cselect_b32 s11, s7, 0
	s_cselect_b32 s10, s6, 56
	s_add_u32 s0, s8, 8
	s_addc_u32 s1, s9, 0
	s_and_b32 vcc_lo, exec_lo, s12
	s_cbranch_vccnz .LBB2_445
; %bb.441:                              ;   in Loop: Header=BB2_440 Depth=1
	v_mov_b32_e32 v7, 0
	v_mov_b32_e32 v8, 0
	s_cmp_eq_u64 s[6:7], 0
	s_cbranch_scc1 .LBB2_444
; %bb.442:                              ;   in Loop: Header=BB2_440 Depth=1
	s_lshl_b64 s[0:1], s[10:11], 3
	s_mov_b64 s[12:13], 0
	s_mov_b64 s[14:15], s[8:9]
.LBB2_443:                              ;   Parent Loop BB2_440 Depth=1
                                        ; =>  This Inner Loop Header: Depth=2
	global_load_ubyte v0, v10, s[14:15]
	s_waitcnt vmcnt(0)
	v_and_b32_e32 v9, 0xffff, v0
	v_lshlrev_b64 v[0:1], s12, v[9:10]
	s_add_u32 s12, s12, 8
	s_addc_u32 s13, s13, 0
	s_add_u32 s14, s14, 1
	s_addc_u32 s15, s15, 0
	s_cmp_lg_u32 s0, s12
	v_or_b32_e32 v7, v0, v7
	v_or_b32_e32 v8, v1, v8
	s_cbranch_scc1 .LBB2_443
.LBB2_444:                              ;   in Loop: Header=BB2_440 Depth=1
	s_mov_b64 s[0:1], s[8:9]
	s_mov_b32 s16, 0
	s_cbranch_execz .LBB2_446
	s_branch .LBB2_447
.LBB2_445:                              ;   in Loop: Header=BB2_440 Depth=1
	s_mov_b32 s16, 0
.LBB2_446:                              ;   in Loop: Header=BB2_440 Depth=1
	global_load_dwordx2 v[7:8], v10, s[8:9]
	s_add_i32 s16, s10, -8
.LBB2_447:                              ;   in Loop: Header=BB2_440 Depth=1
	s_add_u32 s12, s0, 8
	s_addc_u32 s13, s1, 0
	s_cmp_gt_u32 s16, 7
	s_cbranch_scc1 .LBB2_452
; %bb.448:                              ;   in Loop: Header=BB2_440 Depth=1
	v_mov_b32_e32 v13, 0
	v_mov_b32_e32 v14, 0
	s_cmp_eq_u32 s16, 0
	s_cbranch_scc1 .LBB2_451
; %bb.449:                              ;   in Loop: Header=BB2_440 Depth=1
	s_mov_b64 s[12:13], 0
	s_mov_b64 s[14:15], 0
.LBB2_450:                              ;   Parent Loop BB2_440 Depth=1
                                        ; =>  This Inner Loop Header: Depth=2
	s_add_u32 s18, s0, s14
	s_addc_u32 s19, s1, s15
	s_add_u32 s14, s14, 1
	global_load_ubyte v0, v10, s[18:19]
	s_addc_u32 s15, s15, 0
	s_waitcnt vmcnt(0)
	v_and_b32_e32 v9, 0xffff, v0
	v_lshlrev_b64 v[0:1], s12, v[9:10]
	s_add_u32 s12, s12, 8
	s_addc_u32 s13, s13, 0
	s_cmp_lg_u32 s16, s14
	v_or_b32_e32 v13, v0, v13
	v_or_b32_e32 v14, v1, v14
	s_cbranch_scc1 .LBB2_450
.LBB2_451:                              ;   in Loop: Header=BB2_440 Depth=1
	s_mov_b64 s[12:13], s[0:1]
	s_mov_b32 s17, 0
	s_cbranch_execz .LBB2_453
	s_branch .LBB2_454
.LBB2_452:                              ;   in Loop: Header=BB2_440 Depth=1
                                        ; implicit-def: $vgpr13_vgpr14
	s_mov_b32 s17, 0
.LBB2_453:                              ;   in Loop: Header=BB2_440 Depth=1
	global_load_dwordx2 v[13:14], v10, s[0:1]
	s_add_i32 s17, s16, -8
.LBB2_454:                              ;   in Loop: Header=BB2_440 Depth=1
	s_add_u32 s0, s12, 8
	s_addc_u32 s1, s13, 0
	s_cmp_gt_u32 s17, 7
	s_cbranch_scc1 .LBB2_459
; %bb.455:                              ;   in Loop: Header=BB2_440 Depth=1
	v_mov_b32_e32 v15, 0
	v_mov_b32_e32 v16, 0
	s_cmp_eq_u32 s17, 0
	s_cbranch_scc1 .LBB2_458
; %bb.456:                              ;   in Loop: Header=BB2_440 Depth=1
	s_mov_b64 s[0:1], 0
	s_mov_b64 s[14:15], 0
.LBB2_457:                              ;   Parent Loop BB2_440 Depth=1
                                        ; =>  This Inner Loop Header: Depth=2
	s_add_u32 s18, s12, s14
	s_addc_u32 s19, s13, s15
	s_add_u32 s14, s14, 1
	global_load_ubyte v0, v10, s[18:19]
	s_addc_u32 s15, s15, 0
	s_waitcnt vmcnt(0)
	v_and_b32_e32 v9, 0xffff, v0
	v_lshlrev_b64 v[0:1], s0, v[9:10]
	s_add_u32 s0, s0, 8
	s_addc_u32 s1, s1, 0
	s_cmp_lg_u32 s17, s14
	v_or_b32_e32 v15, v0, v15
	v_or_b32_e32 v16, v1, v16
	s_cbranch_scc1 .LBB2_457
.LBB2_458:                              ;   in Loop: Header=BB2_440 Depth=1
	s_mov_b64 s[0:1], s[12:13]
	s_mov_b32 s16, 0
	s_cbranch_execz .LBB2_460
	s_branch .LBB2_461
.LBB2_459:                              ;   in Loop: Header=BB2_440 Depth=1
	s_mov_b32 s16, 0
.LBB2_460:                              ;   in Loop: Header=BB2_440 Depth=1
	global_load_dwordx2 v[15:16], v10, s[12:13]
	s_add_i32 s16, s17, -8
.LBB2_461:                              ;   in Loop: Header=BB2_440 Depth=1
	s_add_u32 s12, s0, 8
	s_addc_u32 s13, s1, 0
	s_cmp_gt_u32 s16, 7
	s_cbranch_scc1 .LBB2_466
; %bb.462:                              ;   in Loop: Header=BB2_440 Depth=1
	v_mov_b32_e32 v17, 0
	v_mov_b32_e32 v18, 0
	s_cmp_eq_u32 s16, 0
	s_cbranch_scc1 .LBB2_465
; %bb.463:                              ;   in Loop: Header=BB2_440 Depth=1
	s_mov_b64 s[12:13], 0
	s_mov_b64 s[14:15], 0
.LBB2_464:                              ;   Parent Loop BB2_440 Depth=1
                                        ; =>  This Inner Loop Header: Depth=2
	s_add_u32 s18, s0, s14
	s_addc_u32 s19, s1, s15
	s_add_u32 s14, s14, 1
	global_load_ubyte v0, v10, s[18:19]
	s_addc_u32 s15, s15, 0
	s_waitcnt vmcnt(0)
	v_and_b32_e32 v9, 0xffff, v0
	v_lshlrev_b64 v[0:1], s12, v[9:10]
	s_add_u32 s12, s12, 8
	s_addc_u32 s13, s13, 0
	s_cmp_lg_u32 s16, s14
	v_or_b32_e32 v17, v0, v17
	v_or_b32_e32 v18, v1, v18
	s_cbranch_scc1 .LBB2_464
.LBB2_465:                              ;   in Loop: Header=BB2_440 Depth=1
	s_mov_b64 s[12:13], s[0:1]
	s_mov_b32 s17, 0
	s_cbranch_execz .LBB2_467
	s_branch .LBB2_468
.LBB2_466:                              ;   in Loop: Header=BB2_440 Depth=1
                                        ; implicit-def: $vgpr17_vgpr18
	s_mov_b32 s17, 0
.LBB2_467:                              ;   in Loop: Header=BB2_440 Depth=1
	global_load_dwordx2 v[17:18], v10, s[0:1]
	s_add_i32 s17, s16, -8
.LBB2_468:                              ;   in Loop: Header=BB2_440 Depth=1
	s_add_u32 s0, s12, 8
	s_addc_u32 s1, s13, 0
	s_cmp_gt_u32 s17, 7
	s_cbranch_scc1 .LBB2_473
; %bb.469:                              ;   in Loop: Header=BB2_440 Depth=1
	v_mov_b32_e32 v19, 0
	v_mov_b32_e32 v20, 0
	s_cmp_eq_u32 s17, 0
	s_cbranch_scc1 .LBB2_472
; %bb.470:                              ;   in Loop: Header=BB2_440 Depth=1
	s_mov_b64 s[0:1], 0
	s_mov_b64 s[14:15], 0
.LBB2_471:                              ;   Parent Loop BB2_440 Depth=1
                                        ; =>  This Inner Loop Header: Depth=2
	s_add_u32 s18, s12, s14
	s_addc_u32 s19, s13, s15
	s_add_u32 s14, s14, 1
	global_load_ubyte v0, v10, s[18:19]
	s_addc_u32 s15, s15, 0
	s_waitcnt vmcnt(0)
	v_and_b32_e32 v9, 0xffff, v0
	v_lshlrev_b64 v[0:1], s0, v[9:10]
	s_add_u32 s0, s0, 8
	s_addc_u32 s1, s1, 0
	s_cmp_lg_u32 s17, s14
	v_or_b32_e32 v19, v0, v19
	v_or_b32_e32 v20, v1, v20
	s_cbranch_scc1 .LBB2_471
.LBB2_472:                              ;   in Loop: Header=BB2_440 Depth=1
	s_mov_b64 s[0:1], s[12:13]
	s_mov_b32 s16, 0
	s_cbranch_execz .LBB2_474
	s_branch .LBB2_475
.LBB2_473:                              ;   in Loop: Header=BB2_440 Depth=1
	s_mov_b32 s16, 0
.LBB2_474:                              ;   in Loop: Header=BB2_440 Depth=1
	global_load_dwordx2 v[19:20], v10, s[12:13]
	s_add_i32 s16, s17, -8
.LBB2_475:                              ;   in Loop: Header=BB2_440 Depth=1
	s_add_u32 s12, s0, 8
	s_addc_u32 s13, s1, 0
	s_cmp_gt_u32 s16, 7
	s_cbranch_scc1 .LBB2_480
; %bb.476:                              ;   in Loop: Header=BB2_440 Depth=1
	v_mov_b32_e32 v21, 0
	v_mov_b32_e32 v22, 0
	s_cmp_eq_u32 s16, 0
	s_cbranch_scc1 .LBB2_479
; %bb.477:                              ;   in Loop: Header=BB2_440 Depth=1
	s_mov_b64 s[12:13], 0
	s_mov_b64 s[14:15], 0
.LBB2_478:                              ;   Parent Loop BB2_440 Depth=1
                                        ; =>  This Inner Loop Header: Depth=2
	s_add_u32 s18, s0, s14
	s_addc_u32 s19, s1, s15
	s_add_u32 s14, s14, 1
	global_load_ubyte v0, v10, s[18:19]
	s_addc_u32 s15, s15, 0
	s_waitcnt vmcnt(0)
	v_and_b32_e32 v9, 0xffff, v0
	v_lshlrev_b64 v[0:1], s12, v[9:10]
	s_add_u32 s12, s12, 8
	s_addc_u32 s13, s13, 0
	s_cmp_lg_u32 s16, s14
	v_or_b32_e32 v21, v0, v21
	v_or_b32_e32 v22, v1, v22
	s_cbranch_scc1 .LBB2_478
.LBB2_479:                              ;   in Loop: Header=BB2_440 Depth=1
	s_mov_b64 s[12:13], s[0:1]
	s_mov_b32 s17, 0
	s_cbranch_execz .LBB2_481
	s_branch .LBB2_482
.LBB2_480:                              ;   in Loop: Header=BB2_440 Depth=1
                                        ; implicit-def: $vgpr21_vgpr22
	s_mov_b32 s17, 0
.LBB2_481:                              ;   in Loop: Header=BB2_440 Depth=1
	global_load_dwordx2 v[21:22], v10, s[0:1]
	s_add_i32 s17, s16, -8
.LBB2_482:                              ;   in Loop: Header=BB2_440 Depth=1
	s_cmp_gt_u32 s17, 7
	s_cbranch_scc1 .LBB2_487
; %bb.483:                              ;   in Loop: Header=BB2_440 Depth=1
	v_mov_b32_e32 v23, 0
	v_mov_b32_e32 v24, 0
	s_cmp_eq_u32 s17, 0
	s_cbranch_scc1 .LBB2_486
; %bb.484:                              ;   in Loop: Header=BB2_440 Depth=1
	s_mov_b64 s[0:1], 0
	s_mov_b64 s[14:15], s[12:13]
.LBB2_485:                              ;   Parent Loop BB2_440 Depth=1
                                        ; =>  This Inner Loop Header: Depth=2
	global_load_ubyte v0, v10, s[14:15]
	s_add_i32 s17, s17, -1
	s_waitcnt vmcnt(0)
	v_and_b32_e32 v9, 0xffff, v0
	v_lshlrev_b64 v[0:1], s0, v[9:10]
	s_add_u32 s0, s0, 8
	s_addc_u32 s1, s1, 0
	s_add_u32 s14, s14, 1
	s_addc_u32 s15, s15, 0
	s_cmp_lg_u32 s17, 0
	v_or_b32_e32 v23, v0, v23
	v_or_b32_e32 v24, v1, v24
	s_cbranch_scc1 .LBB2_485
.LBB2_486:                              ;   in Loop: Header=BB2_440 Depth=1
	s_cbranch_execz .LBB2_488
	s_branch .LBB2_489
.LBB2_487:                              ;   in Loop: Header=BB2_440 Depth=1
.LBB2_488:                              ;   in Loop: Header=BB2_440 Depth=1
	global_load_dwordx2 v[23:24], v10, s[12:13]
.LBB2_489:                              ;   in Loop: Header=BB2_440 Depth=1
	v_readfirstlane_b32 s0, v31
	v_mov_b32_e32 v0, 0
	v_mov_b32_e32 v1, 0
	v_cmp_eq_u32_e64 s0, s0, v31
	s_and_saveexec_b32 s1, s0
	s_cbranch_execz .LBB2_495
; %bb.490:                              ;   in Loop: Header=BB2_440 Depth=1
	global_load_dwordx2 v[27:28], v10, s[2:3] offset:24 glc dlc
	s_waitcnt vmcnt(0)
	buffer_gl1_inv
	buffer_gl0_inv
	s_clause 0x1
	global_load_dwordx2 v[0:1], v10, s[2:3] offset:40
	global_load_dwordx2 v[25:26], v10, s[2:3]
	s_mov_b32 s12, exec_lo
	s_waitcnt vmcnt(1)
	v_and_b32_e32 v1, v1, v28
	v_and_b32_e32 v0, v0, v27
	v_mul_lo_u32 v1, v1, 24
	v_mul_hi_u32 v9, v0, 24
	v_mul_lo_u32 v0, v0, 24
	v_add_nc_u32_e32 v1, v9, v1
	s_waitcnt vmcnt(0)
	v_add_co_u32 v0, vcc_lo, v25, v0
	v_add_co_ci_u32_e64 v1, null, v26, v1, vcc_lo
	global_load_dwordx2 v[25:26], v[0:1], off glc dlc
	s_waitcnt vmcnt(0)
	global_atomic_cmpswap_x2 v[0:1], v10, v[25:28], s[2:3] offset:24 glc
	s_waitcnt vmcnt(0)
	buffer_gl1_inv
	buffer_gl0_inv
	v_cmpx_ne_u64_e64 v[0:1], v[27:28]
	s_cbranch_execz .LBB2_494
; %bb.491:                              ;   in Loop: Header=BB2_440 Depth=1
	s_mov_b32 s13, 0
	.p2align	6
.LBB2_492:                              ;   Parent Loop BB2_440 Depth=1
                                        ; =>  This Inner Loop Header: Depth=2
	s_sleep 1
	s_clause 0x1
	global_load_dwordx2 v[25:26], v10, s[2:3] offset:40
	global_load_dwordx2 v[33:34], v10, s[2:3]
	v_mov_b32_e32 v28, v1
	v_mov_b32_e32 v27, v0
	s_waitcnt vmcnt(1)
	v_and_b32_e32 v0, v25, v27
	v_and_b32_e32 v9, v26, v28
	s_waitcnt vmcnt(0)
	v_mad_u64_u32 v[0:1], null, v0, 24, v[33:34]
	v_mad_u64_u32 v[25:26], null, v9, 24, v[1:2]
	v_mov_b32_e32 v1, v25
	global_load_dwordx2 v[25:26], v[0:1], off glc dlc
	s_waitcnt vmcnt(0)
	global_atomic_cmpswap_x2 v[0:1], v10, v[25:28], s[2:3] offset:24 glc
	s_waitcnt vmcnt(0)
	buffer_gl1_inv
	buffer_gl0_inv
	v_cmp_eq_u64_e32 vcc_lo, v[0:1], v[27:28]
	s_or_b32 s13, vcc_lo, s13
	s_andn2_b32 exec_lo, exec_lo, s13
	s_cbranch_execnz .LBB2_492
; %bb.493:                              ;   in Loop: Header=BB2_440 Depth=1
	s_or_b32 exec_lo, exec_lo, s13
.LBB2_494:                              ;   in Loop: Header=BB2_440 Depth=1
	s_or_b32 exec_lo, exec_lo, s12
.LBB2_495:                              ;   in Loop: Header=BB2_440 Depth=1
	s_or_b32 exec_lo, exec_lo, s1
	s_clause 0x1
	global_load_dwordx2 v[33:34], v10, s[2:3] offset:40
	global_load_dwordx4 v[25:28], v10, s[2:3]
	v_readfirstlane_b32 s13, v1
	v_readfirstlane_b32 s12, v0
	s_mov_b32 s1, exec_lo
	s_waitcnt vmcnt(1)
	v_readfirstlane_b32 s14, v33
	v_readfirstlane_b32 s15, v34
	s_and_b64 s[14:15], s[14:15], s[12:13]
	s_mul_i32 s16, s15, 24
	s_mul_hi_u32 s17, s14, 24
	s_mul_i32 s18, s14, 24
	s_add_i32 s17, s17, s16
	s_waitcnt vmcnt(0)
	v_add_co_u32 v0, vcc_lo, v25, s18
	v_add_co_ci_u32_e64 v1, null, s17, v26, vcc_lo
	s_and_saveexec_b32 s16, s0
	s_cbranch_execz .LBB2_497
; %bb.496:                              ;   in Loop: Header=BB2_440 Depth=1
	v_mov_b32_e32 v9, s1
	global_store_dwordx4 v[0:1], v[9:12], off offset:8
.LBB2_497:                              ;   in Loop: Header=BB2_440 Depth=1
	s_or_b32 exec_lo, exec_lo, s16
	v_cmp_lt_u64_e64 vcc_lo, s[6:7], 57
	s_lshl_b64 s[14:15], s[14:15], 12
	v_and_b32_e32 v5, 0xffffff1f, v5
	s_lshl_b32 s1, s10, 2
	s_add_i32 s1, s1, 28
	v_cndmask_b32_e32 v9, 0, v32, vcc_lo
	v_add_co_u32 v27, vcc_lo, v27, s14
	v_add_co_ci_u32_e64 v28, null, s15, v28, vcc_lo
	v_or_b32_e32 v5, v5, v9
	v_readfirstlane_b32 s14, v27
	v_readfirstlane_b32 s15, v28
	v_and_or_b32 v5, 0x1e0, s1, v5
	global_store_dwordx4 v30, v[13:16], s[14:15] offset:16
	global_store_dwordx4 v30, v[5:8], s[14:15]
	global_store_dwordx4 v30, v[17:20], s[14:15] offset:32
	global_store_dwordx4 v30, v[21:24], s[14:15] offset:48
	s_and_saveexec_b32 s1, s0
	s_cbranch_execz .LBB2_505
; %bb.498:                              ;   in Loop: Header=BB2_440 Depth=1
	s_clause 0x1
	global_load_dwordx2 v[17:18], v10, s[2:3] offset:32 glc dlc
	global_load_dwordx2 v[5:6], v10, s[2:3] offset:40
	v_mov_b32_e32 v15, s12
	v_mov_b32_e32 v16, s13
	s_waitcnt vmcnt(0)
	v_readfirstlane_b32 s14, v5
	v_readfirstlane_b32 s15, v6
	s_and_b64 s[14:15], s[14:15], s[12:13]
	s_mul_i32 s15, s15, 24
	s_mul_hi_u32 s16, s14, 24
	s_mul_i32 s14, s14, 24
	s_add_i32 s16, s16, s15
	v_add_co_u32 v13, vcc_lo, v25, s14
	v_add_co_ci_u32_e64 v14, null, s16, v26, vcc_lo
	s_mov_b32 s14, exec_lo
	global_store_dwordx2 v[13:14], v[17:18], off
	s_waitcnt_vscnt null, 0x0
	global_atomic_cmpswap_x2 v[7:8], v10, v[15:18], s[2:3] offset:32 glc
	s_waitcnt vmcnt(0)
	v_cmpx_ne_u64_e64 v[7:8], v[17:18]
	s_cbranch_execz .LBB2_501
; %bb.499:                              ;   in Loop: Header=BB2_440 Depth=1
	s_mov_b32 s15, 0
.LBB2_500:                              ;   Parent Loop BB2_440 Depth=1
                                        ; =>  This Inner Loop Header: Depth=2
	v_mov_b32_e32 v5, s12
	v_mov_b32_e32 v6, s13
	s_sleep 1
	global_store_dwordx2 v[13:14], v[7:8], off
	s_waitcnt_vscnt null, 0x0
	global_atomic_cmpswap_x2 v[5:6], v10, v[5:8], s[2:3] offset:32 glc
	s_waitcnt vmcnt(0)
	v_cmp_eq_u64_e32 vcc_lo, v[5:6], v[7:8]
	v_mov_b32_e32 v8, v6
	v_mov_b32_e32 v7, v5
	s_or_b32 s15, vcc_lo, s15
	s_andn2_b32 exec_lo, exec_lo, s15
	s_cbranch_execnz .LBB2_500
.LBB2_501:                              ;   in Loop: Header=BB2_440 Depth=1
	s_or_b32 exec_lo, exec_lo, s14
	global_load_dwordx2 v[5:6], v10, s[2:3] offset:16
	s_mov_b32 s15, exec_lo
	s_mov_b32 s14, exec_lo
	v_mbcnt_lo_u32_b32 v7, s15, 0
	v_cmpx_eq_u32_e32 0, v7
	s_cbranch_execz .LBB2_503
; %bb.502:                              ;   in Loop: Header=BB2_440 Depth=1
	s_bcnt1_i32_b32 s15, s15
	v_mov_b32_e32 v9, s15
	s_waitcnt vmcnt(0)
	global_atomic_add_x2 v[5:6], v[9:10], off offset:8
.LBB2_503:                              ;   in Loop: Header=BB2_440 Depth=1
	s_or_b32 exec_lo, exec_lo, s14
	s_waitcnt vmcnt(0)
	global_load_dwordx2 v[7:8], v[5:6], off offset:16
	s_waitcnt vmcnt(0)
	v_cmp_eq_u64_e32 vcc_lo, 0, v[7:8]
	s_cbranch_vccnz .LBB2_505
; %bb.504:                              ;   in Loop: Header=BB2_440 Depth=1
	global_load_dword v9, v[5:6], off offset:24
	s_waitcnt vmcnt(0)
	v_readfirstlane_b32 s14, v9
	s_waitcnt_vscnt null, 0x0
	global_store_dwordx2 v[7:8], v[9:10], off
	s_and_b32 m0, s14, 0x7fffff
	s_sendmsg sendmsg(MSG_INTERRUPT)
.LBB2_505:                              ;   in Loop: Header=BB2_440 Depth=1
	s_or_b32 exec_lo, exec_lo, s1
	v_add_co_u32 v5, vcc_lo, v27, v30
	v_add_co_ci_u32_e64 v6, null, 0, v28, vcc_lo
	s_branch .LBB2_509
	.p2align	6
.LBB2_506:                              ;   in Loop: Header=BB2_509 Depth=2
	s_or_b32 exec_lo, exec_lo, s1
	v_readfirstlane_b32 s1, v7
	s_cmp_eq_u32 s1, 0
	s_cbranch_scc1 .LBB2_508
; %bb.507:                              ;   in Loop: Header=BB2_509 Depth=2
	s_sleep 1
	s_cbranch_execnz .LBB2_509
	s_branch .LBB2_511
	.p2align	6
.LBB2_508:                              ;   in Loop: Header=BB2_440 Depth=1
	s_branch .LBB2_511
.LBB2_509:                              ;   Parent Loop BB2_440 Depth=1
                                        ; =>  This Inner Loop Header: Depth=2
	v_mov_b32_e32 v7, 1
	s_and_saveexec_b32 s1, s0
	s_cbranch_execz .LBB2_506
; %bb.510:                              ;   in Loop: Header=BB2_509 Depth=2
	global_load_dword v7, v[0:1], off offset:20 glc dlc
	s_waitcnt vmcnt(0)
	buffer_gl1_inv
	buffer_gl0_inv
	v_and_b32_e32 v7, 1, v7
	s_branch .LBB2_506
.LBB2_511:                              ;   in Loop: Header=BB2_440 Depth=1
	global_load_dwordx2 v[5:6], v[5:6], off
	s_and_saveexec_b32 s14, s0
	s_cbranch_execz .LBB2_439
; %bb.512:                              ;   in Loop: Header=BB2_440 Depth=1
	s_clause 0x2
	global_load_dwordx2 v[0:1], v10, s[2:3] offset:40
	global_load_dwordx2 v[17:18], v10, s[2:3] offset:24 glc dlc
	global_load_dwordx2 v[7:8], v10, s[2:3]
	s_waitcnt vmcnt(2)
	v_readfirstlane_b32 s16, v0
	v_readfirstlane_b32 s17, v1
	s_add_u32 s15, s16, 1
	s_addc_u32 s18, s17, 0
	s_add_u32 s0, s15, s12
	s_addc_u32 s1, s18, s13
	s_cmp_eq_u64 s[0:1], 0
	s_cselect_b32 s1, s18, s1
	s_cselect_b32 s0, s15, s0
	v_mov_b32_e32 v16, s1
	s_and_b64 s[12:13], s[0:1], s[16:17]
	v_mov_b32_e32 v15, s0
	s_mul_i32 s13, s13, 24
	s_mul_hi_u32 s15, s12, 24
	s_mul_i32 s12, s12, 24
	s_add_i32 s15, s15, s13
	s_waitcnt vmcnt(0)
	v_add_co_u32 v0, vcc_lo, v7, s12
	v_add_co_ci_u32_e64 v1, null, s15, v8, vcc_lo
	global_store_dwordx2 v[0:1], v[17:18], off
	s_waitcnt_vscnt null, 0x0
	global_atomic_cmpswap_x2 v[15:16], v10, v[15:18], s[2:3] offset:24 glc
	s_waitcnt vmcnt(0)
	v_cmp_ne_u64_e32 vcc_lo, v[15:16], v[17:18]
	s_and_b32 exec_lo, exec_lo, vcc_lo
	s_cbranch_execz .LBB2_439
; %bb.513:                              ;   in Loop: Header=BB2_440 Depth=1
	s_mov_b32 s12, 0
.LBB2_514:                              ;   Parent Loop BB2_440 Depth=1
                                        ; =>  This Inner Loop Header: Depth=2
	v_mov_b32_e32 v13, s0
	v_mov_b32_e32 v14, s1
	s_sleep 1
	global_store_dwordx2 v[0:1], v[15:16], off
	s_waitcnt_vscnt null, 0x0
	global_atomic_cmpswap_x2 v[7:8], v10, v[13:16], s[2:3] offset:24 glc
	s_waitcnt vmcnt(0)
	v_cmp_eq_u64_e32 vcc_lo, v[7:8], v[15:16]
	v_mov_b32_e32 v16, v8
	v_mov_b32_e32 v15, v7
	s_or_b32 s12, vcc_lo, s12
	s_andn2_b32 exec_lo, exec_lo, s12
	s_cbranch_execnz .LBB2_514
	s_branch .LBB2_439
.LBB2_515:
	s_branch .LBB2_544
.LBB2_516:
                                        ; implicit-def: $vgpr5_vgpr6
	s_cbranch_execz .LBB2_544
; %bb.517:
	v_readfirstlane_b32 s0, v31
	v_mov_b32_e32 v0, 0
	v_mov_b32_e32 v1, 0
	v_cmp_eq_u32_e64 s0, s0, v31
	s_and_saveexec_b32 s1, s0
	s_cbranch_execz .LBB2_523
; %bb.518:
	s_waitcnt vmcnt(0)
	v_mov_b32_e32 v5, 0
	s_mov_b32 s6, exec_lo
	global_load_dwordx2 v[8:9], v5, s[2:3] offset:24 glc dlc
	s_waitcnt vmcnt(0)
	buffer_gl1_inv
	buffer_gl0_inv
	s_clause 0x1
	global_load_dwordx2 v[0:1], v5, s[2:3] offset:40
	global_load_dwordx2 v[6:7], v5, s[2:3]
	s_waitcnt vmcnt(1)
	v_and_b32_e32 v1, v1, v9
	v_and_b32_e32 v0, v0, v8
	v_mul_lo_u32 v1, v1, 24
	v_mul_hi_u32 v10, v0, 24
	v_mul_lo_u32 v0, v0, 24
	v_add_nc_u32_e32 v1, v10, v1
	s_waitcnt vmcnt(0)
	v_add_co_u32 v0, vcc_lo, v6, v0
	v_add_co_ci_u32_e64 v1, null, v7, v1, vcc_lo
	global_load_dwordx2 v[6:7], v[0:1], off glc dlc
	s_waitcnt vmcnt(0)
	global_atomic_cmpswap_x2 v[0:1], v5, v[6:9], s[2:3] offset:24 glc
	s_waitcnt vmcnt(0)
	buffer_gl1_inv
	buffer_gl0_inv
	v_cmpx_ne_u64_e64 v[0:1], v[8:9]
	s_cbranch_execz .LBB2_522
; %bb.519:
	s_mov_b32 s7, 0
	.p2align	6
.LBB2_520:                              ; =>This Inner Loop Header: Depth=1
	s_sleep 1
	s_clause 0x1
	global_load_dwordx2 v[6:7], v5, s[2:3] offset:40
	global_load_dwordx2 v[10:11], v5, s[2:3]
	v_mov_b32_e32 v9, v1
	v_mov_b32_e32 v8, v0
	s_waitcnt vmcnt(1)
	v_and_b32_e32 v0, v6, v8
	v_and_b32_e32 v6, v7, v9
	s_waitcnt vmcnt(0)
	v_mad_u64_u32 v[0:1], null, v0, 24, v[10:11]
	v_mad_u64_u32 v[6:7], null, v6, 24, v[1:2]
	v_mov_b32_e32 v1, v6
	global_load_dwordx2 v[6:7], v[0:1], off glc dlc
	s_waitcnt vmcnt(0)
	global_atomic_cmpswap_x2 v[0:1], v5, v[6:9], s[2:3] offset:24 glc
	s_waitcnt vmcnt(0)
	buffer_gl1_inv
	buffer_gl0_inv
	v_cmp_eq_u64_e32 vcc_lo, v[0:1], v[8:9]
	s_or_b32 s7, vcc_lo, s7
	s_andn2_b32 exec_lo, exec_lo, s7
	s_cbranch_execnz .LBB2_520
; %bb.521:
	s_or_b32 exec_lo, exec_lo, s7
.LBB2_522:
	s_or_b32 exec_lo, exec_lo, s6
.LBB2_523:
	s_or_b32 exec_lo, exec_lo, s1
	s_waitcnt vmcnt(0)
	v_mov_b32_e32 v5, 0
	v_readfirstlane_b32 s7, v1
	v_readfirstlane_b32 s6, v0
	s_mov_b32 s1, exec_lo
	s_clause 0x1
	global_load_dwordx2 v[11:12], v5, s[2:3] offset:40
	global_load_dwordx4 v[7:10], v5, s[2:3]
	s_waitcnt vmcnt(1)
	v_readfirstlane_b32 s8, v11
	v_readfirstlane_b32 s9, v12
	s_and_b64 s[8:9], s[8:9], s[6:7]
	s_mul_i32 s10, s9, 24
	s_mul_hi_u32 s11, s8, 24
	s_mul_i32 s12, s8, 24
	s_add_i32 s11, s11, s10
	s_waitcnt vmcnt(0)
	v_add_co_u32 v0, vcc_lo, v7, s12
	v_add_co_ci_u32_e64 v1, null, s11, v8, vcc_lo
	s_and_saveexec_b32 s10, s0
	s_cbranch_execz .LBB2_525
; %bb.524:
	v_mov_b32_e32 v11, s1
	v_mov_b32_e32 v12, v5
	;; [unrolled: 1-line block ×4, first 2 shown]
	global_store_dwordx4 v[0:1], v[11:14], off offset:8
.LBB2_525:
	s_or_b32 exec_lo, exec_lo, s10
	s_lshl_b64 s[8:9], s[8:9], 12
	v_and_or_b32 v3, 0xffffff1f, v3, 32
	v_add_co_u32 v9, vcc_lo, v9, s8
	v_add_co_ci_u32_e64 v10, null, s9, v10, vcc_lo
	s_mov_b32 s8, 0
	v_readfirstlane_b32 s12, v9
	s_mov_b32 s11, s8
	v_add_co_u32 v9, vcc_lo, v9, v30
	s_mov_b32 s9, s8
	s_mov_b32 s10, s8
	v_mov_b32_e32 v6, v5
	v_readfirstlane_b32 s13, v10
	v_mov_b32_e32 v14, s11
	v_add_co_ci_u32_e64 v10, null, 0, v10, vcc_lo
	v_mov_b32_e32 v13, s10
	v_mov_b32_e32 v12, s9
	;; [unrolled: 1-line block ×3, first 2 shown]
	global_store_dwordx4 v30, v[3:6], s[12:13]
	global_store_dwordx4 v30, v[11:14], s[12:13] offset:16
	global_store_dwordx4 v30, v[11:14], s[12:13] offset:32
	;; [unrolled: 1-line block ×3, first 2 shown]
	s_and_saveexec_b32 s1, s0
	s_cbranch_execz .LBB2_533
; %bb.526:
	v_mov_b32_e32 v11, 0
	v_mov_b32_e32 v12, s6
	;; [unrolled: 1-line block ×3, first 2 shown]
	s_clause 0x1
	global_load_dwordx2 v[14:15], v11, s[2:3] offset:32 glc dlc
	global_load_dwordx2 v[3:4], v11, s[2:3] offset:40
	s_waitcnt vmcnt(0)
	v_readfirstlane_b32 s8, v3
	v_readfirstlane_b32 s9, v4
	s_and_b64 s[8:9], s[8:9], s[6:7]
	s_mul_i32 s9, s9, 24
	s_mul_hi_u32 s10, s8, 24
	s_mul_i32 s8, s8, 24
	s_add_i32 s10, s10, s9
	v_add_co_u32 v7, vcc_lo, v7, s8
	v_add_co_ci_u32_e64 v8, null, s10, v8, vcc_lo
	s_mov_b32 s8, exec_lo
	global_store_dwordx2 v[7:8], v[14:15], off
	s_waitcnt_vscnt null, 0x0
	global_atomic_cmpswap_x2 v[5:6], v11, v[12:15], s[2:3] offset:32 glc
	s_waitcnt vmcnt(0)
	v_cmpx_ne_u64_e64 v[5:6], v[14:15]
	s_cbranch_execz .LBB2_529
; %bb.527:
	s_mov_b32 s9, 0
.LBB2_528:                              ; =>This Inner Loop Header: Depth=1
	v_mov_b32_e32 v3, s6
	v_mov_b32_e32 v4, s7
	s_sleep 1
	global_store_dwordx2 v[7:8], v[5:6], off
	s_waitcnt_vscnt null, 0x0
	global_atomic_cmpswap_x2 v[3:4], v11, v[3:6], s[2:3] offset:32 glc
	s_waitcnt vmcnt(0)
	v_cmp_eq_u64_e32 vcc_lo, v[3:4], v[5:6]
	v_mov_b32_e32 v6, v4
	v_mov_b32_e32 v5, v3
	s_or_b32 s9, vcc_lo, s9
	s_andn2_b32 exec_lo, exec_lo, s9
	s_cbranch_execnz .LBB2_528
.LBB2_529:
	s_or_b32 exec_lo, exec_lo, s8
	v_mov_b32_e32 v6, 0
	s_mov_b32 s9, exec_lo
	s_mov_b32 s8, exec_lo
	v_mbcnt_lo_u32_b32 v5, s9, 0
	global_load_dwordx2 v[3:4], v6, s[2:3] offset:16
	v_cmpx_eq_u32_e32 0, v5
	s_cbranch_execz .LBB2_531
; %bb.530:
	s_bcnt1_i32_b32 s9, s9
	v_mov_b32_e32 v5, s9
	s_waitcnt vmcnt(0)
	global_atomic_add_x2 v[3:4], v[5:6], off offset:8
.LBB2_531:
	s_or_b32 exec_lo, exec_lo, s8
	s_waitcnt vmcnt(0)
	global_load_dwordx2 v[5:6], v[3:4], off offset:16
	s_waitcnt vmcnt(0)
	v_cmp_eq_u64_e32 vcc_lo, 0, v[5:6]
	s_cbranch_vccnz .LBB2_533
; %bb.532:
	global_load_dword v3, v[3:4], off offset:24
	v_mov_b32_e32 v4, 0
	s_waitcnt vmcnt(0)
	v_readfirstlane_b32 s8, v3
	s_waitcnt_vscnt null, 0x0
	global_store_dwordx2 v[5:6], v[3:4], off
	s_and_b32 m0, s8, 0x7fffff
	s_sendmsg sendmsg(MSG_INTERRUPT)
.LBB2_533:
	s_or_b32 exec_lo, exec_lo, s1
	s_branch .LBB2_537
	.p2align	6
.LBB2_534:                              ;   in Loop: Header=BB2_537 Depth=1
	s_or_b32 exec_lo, exec_lo, s1
	v_readfirstlane_b32 s1, v3
	s_cmp_eq_u32 s1, 0
	s_cbranch_scc1 .LBB2_536
; %bb.535:                              ;   in Loop: Header=BB2_537 Depth=1
	s_sleep 1
	s_cbranch_execnz .LBB2_537
	s_branch .LBB2_539
	.p2align	6
.LBB2_536:
	s_branch .LBB2_539
.LBB2_537:                              ; =>This Inner Loop Header: Depth=1
	v_mov_b32_e32 v3, 1
	s_and_saveexec_b32 s1, s0
	s_cbranch_execz .LBB2_534
; %bb.538:                              ;   in Loop: Header=BB2_537 Depth=1
	global_load_dword v3, v[0:1], off offset:20 glc dlc
	s_waitcnt vmcnt(0)
	buffer_gl1_inv
	buffer_gl0_inv
	v_and_b32_e32 v3, 1, v3
	s_branch .LBB2_534
.LBB2_539:
	global_load_dwordx2 v[5:6], v[9:10], off
	s_and_saveexec_b32 s8, s0
	s_cbranch_execz .LBB2_543
; %bb.540:
	v_mov_b32_e32 v3, 0
	s_clause 0x2
	global_load_dwordx2 v[0:1], v3, s[2:3] offset:40
	global_load_dwordx2 v[11:12], v3, s[2:3] offset:24 glc dlc
	global_load_dwordx2 v[7:8], v3, s[2:3]
	s_waitcnt vmcnt(2)
	v_readfirstlane_b32 s10, v0
	v_readfirstlane_b32 s11, v1
	s_add_u32 s9, s10, 1
	s_addc_u32 s12, s11, 0
	s_add_u32 s0, s9, s6
	s_addc_u32 s1, s12, s7
	s_cmp_eq_u64 s[0:1], 0
	s_cselect_b32 s1, s12, s1
	s_cselect_b32 s0, s9, s0
	v_mov_b32_e32 v10, s1
	s_and_b64 s[6:7], s[0:1], s[10:11]
	v_mov_b32_e32 v9, s0
	s_mul_i32 s7, s7, 24
	s_mul_hi_u32 s9, s6, 24
	s_mul_i32 s6, s6, 24
	s_add_i32 s9, s9, s7
	s_waitcnt vmcnt(0)
	v_add_co_u32 v0, vcc_lo, v7, s6
	v_add_co_ci_u32_e64 v1, null, s9, v8, vcc_lo
	global_store_dwordx2 v[0:1], v[11:12], off
	s_waitcnt_vscnt null, 0x0
	global_atomic_cmpswap_x2 v[9:10], v3, v[9:12], s[2:3] offset:24 glc
	s_waitcnt vmcnt(0)
	v_cmp_ne_u64_e32 vcc_lo, v[9:10], v[11:12]
	s_and_b32 exec_lo, exec_lo, vcc_lo
	s_cbranch_execz .LBB2_543
; %bb.541:
	s_mov_b32 s6, 0
.LBB2_542:                              ; =>This Inner Loop Header: Depth=1
	v_mov_b32_e32 v7, s0
	v_mov_b32_e32 v8, s1
	s_sleep 1
	global_store_dwordx2 v[0:1], v[9:10], off
	s_waitcnt_vscnt null, 0x0
	global_atomic_cmpswap_x2 v[7:8], v3, v[7:10], s[2:3] offset:24 glc
	s_waitcnt vmcnt(0)
	v_cmp_eq_u64_e32 vcc_lo, v[7:8], v[9:10]
	v_mov_b32_e32 v10, v8
	v_mov_b32_e32 v9, v7
	s_or_b32 s6, vcc_lo, s6
	s_andn2_b32 exec_lo, exec_lo, s6
	s_cbranch_execnz .LBB2_542
.LBB2_543:
	s_or_b32 exec_lo, exec_lo, s8
.LBB2_544:
	v_readfirstlane_b32 s0, v31
	v_mov_b32_e32 v0, 0
	v_mov_b32_e32 v1, 0
	v_cmp_eq_u32_e64 s0, s0, v31
	s_and_saveexec_b32 s1, s0
	s_cbranch_execz .LBB2_550
; %bb.545:
	s_waitcnt vmcnt(0)
	v_mov_b32_e32 v3, 0
	s_mov_b32 s6, exec_lo
	global_load_dwordx2 v[9:10], v3, s[2:3] offset:24 glc dlc
	s_waitcnt vmcnt(0)
	buffer_gl1_inv
	buffer_gl0_inv
	s_clause 0x1
	global_load_dwordx2 v[0:1], v3, s[2:3] offset:40
	global_load_dwordx2 v[7:8], v3, s[2:3]
	s_waitcnt vmcnt(1)
	v_and_b32_e32 v1, v1, v10
	v_and_b32_e32 v0, v0, v9
	v_mul_lo_u32 v1, v1, 24
	v_mul_hi_u32 v4, v0, 24
	v_mul_lo_u32 v0, v0, 24
	v_add_nc_u32_e32 v1, v4, v1
	s_waitcnt vmcnt(0)
	v_add_co_u32 v0, vcc_lo, v7, v0
	v_add_co_ci_u32_e64 v1, null, v8, v1, vcc_lo
	global_load_dwordx2 v[7:8], v[0:1], off glc dlc
	s_waitcnt vmcnt(0)
	global_atomic_cmpswap_x2 v[0:1], v3, v[7:10], s[2:3] offset:24 glc
	s_waitcnt vmcnt(0)
	buffer_gl1_inv
	buffer_gl0_inv
	v_cmpx_ne_u64_e64 v[0:1], v[9:10]
	s_cbranch_execz .LBB2_549
; %bb.546:
	s_mov_b32 s7, 0
	.p2align	6
.LBB2_547:                              ; =>This Inner Loop Header: Depth=1
	s_sleep 1
	s_clause 0x1
	global_load_dwordx2 v[7:8], v3, s[2:3] offset:40
	global_load_dwordx2 v[11:12], v3, s[2:3]
	v_mov_b32_e32 v10, v1
	v_mov_b32_e32 v9, v0
	s_waitcnt vmcnt(1)
	v_and_b32_e32 v0, v7, v9
	v_and_b32_e32 v4, v8, v10
	s_waitcnt vmcnt(0)
	v_mad_u64_u32 v[0:1], null, v0, 24, v[11:12]
	v_mad_u64_u32 v[7:8], null, v4, 24, v[1:2]
	v_mov_b32_e32 v1, v7
	global_load_dwordx2 v[7:8], v[0:1], off glc dlc
	s_waitcnt vmcnt(0)
	global_atomic_cmpswap_x2 v[0:1], v3, v[7:10], s[2:3] offset:24 glc
	s_waitcnt vmcnt(0)
	buffer_gl1_inv
	buffer_gl0_inv
	v_cmp_eq_u64_e32 vcc_lo, v[0:1], v[9:10]
	s_or_b32 s7, vcc_lo, s7
	s_andn2_b32 exec_lo, exec_lo, s7
	s_cbranch_execnz .LBB2_547
; %bb.548:
	s_or_b32 exec_lo, exec_lo, s7
.LBB2_549:
	s_or_b32 exec_lo, exec_lo, s6
.LBB2_550:
	s_or_b32 exec_lo, exec_lo, s1
	v_mov_b32_e32 v8, 0
	v_readfirstlane_b32 s7, v1
	v_readfirstlane_b32 s6, v0
	s_mov_b32 s1, exec_lo
	s_clause 0x1
	global_load_dwordx2 v[3:4], v8, s[2:3] offset:40
	global_load_dwordx4 v[9:12], v8, s[2:3]
	s_waitcnt vmcnt(1)
	v_readfirstlane_b32 s8, v3
	v_readfirstlane_b32 s9, v4
	s_and_b64 s[8:9], s[8:9], s[6:7]
	s_mul_i32 s10, s9, 24
	s_mul_hi_u32 s11, s8, 24
	s_mul_i32 s12, s8, 24
	s_add_i32 s11, s11, s10
	s_waitcnt vmcnt(0)
	v_add_co_u32 v0, vcc_lo, v9, s12
	v_add_co_ci_u32_e64 v1, null, s11, v10, vcc_lo
	s_and_saveexec_b32 s10, s0
	s_cbranch_execz .LBB2_552
; %bb.551:
	v_mov_b32_e32 v7, s1
	v_mov_b32_e32 v14, v8
	;; [unrolled: 1-line block ×5, first 2 shown]
	global_store_dwordx4 v[0:1], v[13:16], off offset:8
.LBB2_552:
	s_or_b32 exec_lo, exec_lo, s10
	s_lshl_b64 s[8:9], s[8:9], 12
	v_and_or_b32 v5, 0xffffff1f, v5, 32
	v_add_co_u32 v3, vcc_lo, v11, s8
	v_add_co_ci_u32_e64 v4, null, s9, v12, vcc_lo
	s_mov_b32 s8, 0
	v_add_co_u32 v11, vcc_lo, v3, v30
	s_mov_b32 s11, s8
	s_mov_b32 s9, s8
	;; [unrolled: 1-line block ×3, first 2 shown]
	v_mov_b32_e32 v7, 1
	v_readfirstlane_b32 s12, v3
	v_readfirstlane_b32 s13, v4
	v_mov_b32_e32 v16, s11
	v_add_co_ci_u32_e64 v12, null, 0, v4, vcc_lo
	v_mov_b32_e32 v15, s10
	v_mov_b32_e32 v14, s9
	;; [unrolled: 1-line block ×3, first 2 shown]
	global_store_dwordx4 v30, v[5:8], s[12:13]
	global_store_dwordx4 v30, v[13:16], s[12:13] offset:16
	global_store_dwordx4 v30, v[13:16], s[12:13] offset:32
	;; [unrolled: 1-line block ×3, first 2 shown]
	s_and_saveexec_b32 s1, s0
	s_cbranch_execz .LBB2_560
; %bb.553:
	v_mov_b32_e32 v13, 0
	v_mov_b32_e32 v14, s6
	;; [unrolled: 1-line block ×3, first 2 shown]
	s_clause 0x1
	global_load_dwordx2 v[16:17], v13, s[2:3] offset:32 glc dlc
	global_load_dwordx2 v[3:4], v13, s[2:3] offset:40
	s_waitcnt vmcnt(0)
	v_readfirstlane_b32 s8, v3
	v_readfirstlane_b32 s9, v4
	s_and_b64 s[8:9], s[8:9], s[6:7]
	s_mul_i32 s9, s9, 24
	s_mul_hi_u32 s10, s8, 24
	s_mul_i32 s8, s8, 24
	s_add_i32 s10, s10, s9
	v_add_co_u32 v7, vcc_lo, v9, s8
	v_add_co_ci_u32_e64 v8, null, s10, v10, vcc_lo
	s_mov_b32 s8, exec_lo
	global_store_dwordx2 v[7:8], v[16:17], off
	s_waitcnt_vscnt null, 0x0
	global_atomic_cmpswap_x2 v[5:6], v13, v[14:17], s[2:3] offset:32 glc
	s_waitcnt vmcnt(0)
	v_cmpx_ne_u64_e64 v[5:6], v[16:17]
	s_cbranch_execz .LBB2_556
; %bb.554:
	s_mov_b32 s9, 0
.LBB2_555:                              ; =>This Inner Loop Header: Depth=1
	v_mov_b32_e32 v3, s6
	v_mov_b32_e32 v4, s7
	s_sleep 1
	global_store_dwordx2 v[7:8], v[5:6], off
	s_waitcnt_vscnt null, 0x0
	global_atomic_cmpswap_x2 v[3:4], v13, v[3:6], s[2:3] offset:32 glc
	s_waitcnt vmcnt(0)
	v_cmp_eq_u64_e32 vcc_lo, v[3:4], v[5:6]
	v_mov_b32_e32 v6, v4
	v_mov_b32_e32 v5, v3
	s_or_b32 s9, vcc_lo, s9
	s_andn2_b32 exec_lo, exec_lo, s9
	s_cbranch_execnz .LBB2_555
.LBB2_556:
	s_or_b32 exec_lo, exec_lo, s8
	v_mov_b32_e32 v6, 0
	s_mov_b32 s9, exec_lo
	s_mov_b32 s8, exec_lo
	v_mbcnt_lo_u32_b32 v5, s9, 0
	global_load_dwordx2 v[3:4], v6, s[2:3] offset:16
	v_cmpx_eq_u32_e32 0, v5
	s_cbranch_execz .LBB2_558
; %bb.557:
	s_bcnt1_i32_b32 s9, s9
	v_mov_b32_e32 v5, s9
	s_waitcnt vmcnt(0)
	global_atomic_add_x2 v[3:4], v[5:6], off offset:8
.LBB2_558:
	s_or_b32 exec_lo, exec_lo, s8
	s_waitcnt vmcnt(0)
	global_load_dwordx2 v[5:6], v[3:4], off offset:16
	s_waitcnt vmcnt(0)
	v_cmp_eq_u64_e32 vcc_lo, 0, v[5:6]
	s_cbranch_vccnz .LBB2_560
; %bb.559:
	global_load_dword v3, v[3:4], off offset:24
	v_mov_b32_e32 v4, 0
	s_waitcnt vmcnt(0)
	v_readfirstlane_b32 s8, v3
	s_waitcnt_vscnt null, 0x0
	global_store_dwordx2 v[5:6], v[3:4], off
	s_and_b32 m0, s8, 0x7fffff
	s_sendmsg sendmsg(MSG_INTERRUPT)
.LBB2_560:
	s_or_b32 exec_lo, exec_lo, s1
	s_branch .LBB2_564
	.p2align	6
.LBB2_561:                              ;   in Loop: Header=BB2_564 Depth=1
	s_or_b32 exec_lo, exec_lo, s1
	v_readfirstlane_b32 s1, v3
	s_cmp_eq_u32 s1, 0
	s_cbranch_scc1 .LBB2_563
; %bb.562:                              ;   in Loop: Header=BB2_564 Depth=1
	s_sleep 1
	s_cbranch_execnz .LBB2_564
	s_branch .LBB2_566
	.p2align	6
.LBB2_563:
	s_branch .LBB2_566
.LBB2_564:                              ; =>This Inner Loop Header: Depth=1
	v_mov_b32_e32 v3, 1
	s_and_saveexec_b32 s1, s0
	s_cbranch_execz .LBB2_561
; %bb.565:                              ;   in Loop: Header=BB2_564 Depth=1
	global_load_dword v3, v[0:1], off offset:20 glc dlc
	s_waitcnt vmcnt(0)
	buffer_gl1_inv
	buffer_gl0_inv
	v_and_b32_e32 v3, 1, v3
	s_branch .LBB2_561
.LBB2_566:
	global_load_dwordx2 v[0:1], v[11:12], off
	s_and_saveexec_b32 s8, s0
	s_cbranch_execz .LBB2_570
; %bb.567:
	v_mov_b32_e32 v9, 0
	s_clause 0x2
	global_load_dwordx2 v[3:4], v9, s[2:3] offset:40
	global_load_dwordx2 v[12:13], v9, s[2:3] offset:24 glc dlc
	global_load_dwordx2 v[5:6], v9, s[2:3]
	s_waitcnt vmcnt(2)
	v_readfirstlane_b32 s10, v3
	v_readfirstlane_b32 s11, v4
	s_add_u32 s9, s10, 1
	s_addc_u32 s12, s11, 0
	s_add_u32 s0, s9, s6
	s_addc_u32 s1, s12, s7
	s_cmp_eq_u64 s[0:1], 0
	s_cselect_b32 s1, s12, s1
	s_cselect_b32 s0, s9, s0
	v_mov_b32_e32 v11, s1
	s_and_b64 s[6:7], s[0:1], s[10:11]
	v_mov_b32_e32 v10, s0
	s_mul_i32 s7, s7, 24
	s_mul_hi_u32 s9, s6, 24
	s_mul_i32 s6, s6, 24
	s_add_i32 s9, s9, s7
	s_waitcnt vmcnt(0)
	v_add_co_u32 v7, vcc_lo, v5, s6
	v_add_co_ci_u32_e64 v8, null, s9, v6, vcc_lo
	global_store_dwordx2 v[7:8], v[12:13], off
	s_waitcnt_vscnt null, 0x0
	global_atomic_cmpswap_x2 v[5:6], v9, v[10:13], s[2:3] offset:24 glc
	s_waitcnt vmcnt(0)
	v_cmp_ne_u64_e32 vcc_lo, v[5:6], v[12:13]
	s_and_b32 exec_lo, exec_lo, vcc_lo
	s_cbranch_execz .LBB2_570
; %bb.568:
	s_mov_b32 s6, 0
.LBB2_569:                              ; =>This Inner Loop Header: Depth=1
	v_mov_b32_e32 v3, s0
	v_mov_b32_e32 v4, s1
	s_sleep 1
	global_store_dwordx2 v[7:8], v[5:6], off
	s_waitcnt_vscnt null, 0x0
	global_atomic_cmpswap_x2 v[3:4], v9, v[3:6], s[2:3] offset:24 glc
	s_waitcnt vmcnt(0)
	v_cmp_eq_u64_e32 vcc_lo, v[3:4], v[5:6]
	v_mov_b32_e32 v6, v4
	v_mov_b32_e32 v5, v3
	s_or_b32 s6, vcc_lo, s6
	s_andn2_b32 exec_lo, exec_lo, s6
	s_cbranch_execnz .LBB2_569
.LBB2_570:
	s_or_b32 exec_lo, exec_lo, s8
	v_readfirstlane_b32 s0, v31
	v_mov_b32_e32 v8, 0
	v_mov_b32_e32 v9, 0
	v_cmp_eq_u32_e64 s0, s0, v31
	s_and_saveexec_b32 s1, s0
	s_cbranch_execz .LBB2_576
; %bb.571:
	v_mov_b32_e32 v3, 0
	s_mov_b32 s6, exec_lo
	global_load_dwordx2 v[6:7], v3, s[2:3] offset:24 glc dlc
	s_waitcnt vmcnt(0)
	buffer_gl1_inv
	buffer_gl0_inv
	s_clause 0x1
	global_load_dwordx2 v[4:5], v3, s[2:3] offset:40
	global_load_dwordx2 v[8:9], v3, s[2:3]
	s_waitcnt vmcnt(1)
	v_and_b32_e32 v5, v5, v7
	v_and_b32_e32 v4, v4, v6
	v_mul_lo_u32 v5, v5, 24
	v_mul_hi_u32 v10, v4, 24
	v_mul_lo_u32 v4, v4, 24
	v_add_nc_u32_e32 v5, v10, v5
	s_waitcnt vmcnt(0)
	v_add_co_u32 v4, vcc_lo, v8, v4
	v_add_co_ci_u32_e64 v5, null, v9, v5, vcc_lo
	global_load_dwordx2 v[4:5], v[4:5], off glc dlc
	s_waitcnt vmcnt(0)
	global_atomic_cmpswap_x2 v[8:9], v3, v[4:7], s[2:3] offset:24 glc
	s_waitcnt vmcnt(0)
	buffer_gl1_inv
	buffer_gl0_inv
	v_cmpx_ne_u64_e64 v[8:9], v[6:7]
	s_cbranch_execz .LBB2_575
; %bb.572:
	s_mov_b32 s7, 0
	.p2align	6
.LBB2_573:                              ; =>This Inner Loop Header: Depth=1
	s_sleep 1
	s_clause 0x1
	global_load_dwordx2 v[4:5], v3, s[2:3] offset:40
	global_load_dwordx2 v[10:11], v3, s[2:3]
	v_mov_b32_e32 v6, v8
	v_mov_b32_e32 v7, v9
	s_waitcnt vmcnt(1)
	v_and_b32_e32 v4, v4, v6
	v_and_b32_e32 v5, v5, v7
	s_waitcnt vmcnt(0)
	v_mad_u64_u32 v[8:9], null, v4, 24, v[10:11]
	v_mov_b32_e32 v4, v9
	v_mad_u64_u32 v[4:5], null, v5, 24, v[4:5]
	v_mov_b32_e32 v9, v4
	global_load_dwordx2 v[4:5], v[8:9], off glc dlc
	s_waitcnt vmcnt(0)
	global_atomic_cmpswap_x2 v[8:9], v3, v[4:7], s[2:3] offset:24 glc
	s_waitcnt vmcnt(0)
	buffer_gl1_inv
	buffer_gl0_inv
	v_cmp_eq_u64_e32 vcc_lo, v[8:9], v[6:7]
	s_or_b32 s7, vcc_lo, s7
	s_andn2_b32 exec_lo, exec_lo, s7
	s_cbranch_execnz .LBB2_573
; %bb.574:
	s_or_b32 exec_lo, exec_lo, s7
.LBB2_575:
	s_or_b32 exec_lo, exec_lo, s6
.LBB2_576:
	s_or_b32 exec_lo, exec_lo, s1
	v_mov_b32_e32 v3, 0
	v_readfirstlane_b32 s7, v9
	v_readfirstlane_b32 s6, v8
	s_mov_b32 s1, exec_lo
	s_clause 0x1
	global_load_dwordx2 v[10:11], v3, s[2:3] offset:40
	global_load_dwordx4 v[4:7], v3, s[2:3]
	s_waitcnt vmcnt(1)
	v_readfirstlane_b32 s8, v10
	v_readfirstlane_b32 s9, v11
	s_and_b64 s[8:9], s[8:9], s[6:7]
	s_mul_i32 s10, s9, 24
	s_mul_hi_u32 s11, s8, 24
	s_mul_i32 s12, s8, 24
	s_add_i32 s11, s11, s10
	s_waitcnt vmcnt(0)
	v_add_co_u32 v8, vcc_lo, v4, s12
	v_add_co_ci_u32_e64 v9, null, s11, v5, vcc_lo
	s_and_saveexec_b32 s10, s0
	s_cbranch_execz .LBB2_578
; %bb.577:
	v_mov_b32_e32 v10, s1
	v_mov_b32_e32 v11, v3
	;; [unrolled: 1-line block ×4, first 2 shown]
	global_store_dwordx4 v[8:9], v[10:13], off offset:8
.LBB2_578:
	s_or_b32 exec_lo, exec_lo, s10
	s_lshl_b64 s[8:9], s[8:9], 12
	v_and_or_b32 v0, 0xffffff1f, v0, 32
	v_add_co_u32 v6, vcc_lo, v6, s8
	v_add_co_ci_u32_e64 v7, null, s9, v7, vcc_lo
	s_mov_b32 s8, 0
	v_add_co_u32 v10, vcc_lo, v6, v30
	s_mov_b32 s11, s8
	s_mov_b32 s9, s8
	;; [unrolled: 1-line block ×3, first 2 shown]
	v_readfirstlane_b32 s12, v6
	v_readfirstlane_b32 s13, v7
	v_mov_b32_e32 v15, s11
	v_add_co_ci_u32_e64 v11, null, 0, v7, vcc_lo
	v_mov_b32_e32 v14, s10
	v_mov_b32_e32 v13, s9
	;; [unrolled: 1-line block ×3, first 2 shown]
	global_store_dwordx4 v30, v[0:3], s[12:13]
	global_store_dwordx4 v30, v[12:15], s[12:13] offset:16
	global_store_dwordx4 v30, v[12:15], s[12:13] offset:32
	;; [unrolled: 1-line block ×3, first 2 shown]
	s_and_saveexec_b32 s1, s0
	s_cbranch_execz .LBB2_586
; %bb.579:
	v_mov_b32_e32 v7, 0
	v_mov_b32_e32 v12, s6
	v_mov_b32_e32 v13, s7
	s_clause 0x1
	global_load_dwordx2 v[14:15], v7, s[2:3] offset:32 glc dlc
	global_load_dwordx2 v[0:1], v7, s[2:3] offset:40
	s_waitcnt vmcnt(0)
	v_readfirstlane_b32 s8, v0
	v_readfirstlane_b32 s9, v1
	s_and_b64 s[8:9], s[8:9], s[6:7]
	s_mul_i32 s9, s9, 24
	s_mul_hi_u32 s10, s8, 24
	s_mul_i32 s8, s8, 24
	s_add_i32 s10, s10, s9
	v_add_co_u32 v0, vcc_lo, v4, s8
	v_add_co_ci_u32_e64 v1, null, s10, v5, vcc_lo
	s_mov_b32 s8, exec_lo
	global_store_dwordx2 v[0:1], v[14:15], off
	s_waitcnt_vscnt null, 0x0
	global_atomic_cmpswap_x2 v[5:6], v7, v[12:15], s[2:3] offset:32 glc
	s_waitcnt vmcnt(0)
	v_cmpx_ne_u64_e64 v[5:6], v[14:15]
	s_cbranch_execz .LBB2_582
; %bb.580:
	s_mov_b32 s9, 0
.LBB2_581:                              ; =>This Inner Loop Header: Depth=1
	v_mov_b32_e32 v3, s6
	v_mov_b32_e32 v4, s7
	s_sleep 1
	global_store_dwordx2 v[0:1], v[5:6], off
	s_waitcnt_vscnt null, 0x0
	global_atomic_cmpswap_x2 v[3:4], v7, v[3:6], s[2:3] offset:32 glc
	s_waitcnt vmcnt(0)
	v_cmp_eq_u64_e32 vcc_lo, v[3:4], v[5:6]
	v_mov_b32_e32 v6, v4
	v_mov_b32_e32 v5, v3
	s_or_b32 s9, vcc_lo, s9
	s_andn2_b32 exec_lo, exec_lo, s9
	s_cbranch_execnz .LBB2_581
.LBB2_582:
	s_or_b32 exec_lo, exec_lo, s8
	v_mov_b32_e32 v4, 0
	s_mov_b32 s9, exec_lo
	s_mov_b32 s8, exec_lo
	v_mbcnt_lo_u32_b32 v3, s9, 0
	global_load_dwordx2 v[0:1], v4, s[2:3] offset:16
	v_cmpx_eq_u32_e32 0, v3
	s_cbranch_execz .LBB2_584
; %bb.583:
	s_bcnt1_i32_b32 s9, s9
	v_mov_b32_e32 v3, s9
	s_waitcnt vmcnt(0)
	global_atomic_add_x2 v[0:1], v[3:4], off offset:8
.LBB2_584:
	s_or_b32 exec_lo, exec_lo, s8
	s_waitcnt vmcnt(0)
	global_load_dwordx2 v[3:4], v[0:1], off offset:16
	s_waitcnt vmcnt(0)
	v_cmp_eq_u64_e32 vcc_lo, 0, v[3:4]
	s_cbranch_vccnz .LBB2_586
; %bb.585:
	global_load_dword v0, v[0:1], off offset:24
	v_mov_b32_e32 v1, 0
	s_waitcnt vmcnt(0)
	v_readfirstlane_b32 s8, v0
	s_waitcnt_vscnt null, 0x0
	global_store_dwordx2 v[3:4], v[0:1], off
	s_and_b32 m0, s8, 0x7fffff
	s_sendmsg sendmsg(MSG_INTERRUPT)
.LBB2_586:
	s_or_b32 exec_lo, exec_lo, s1
	s_branch .LBB2_590
	.p2align	6
.LBB2_587:                              ;   in Loop: Header=BB2_590 Depth=1
	s_or_b32 exec_lo, exec_lo, s1
	v_readfirstlane_b32 s1, v0
	s_cmp_eq_u32 s1, 0
	s_cbranch_scc1 .LBB2_589
; %bb.588:                              ;   in Loop: Header=BB2_590 Depth=1
	s_sleep 1
	s_cbranch_execnz .LBB2_590
	s_branch .LBB2_592
	.p2align	6
.LBB2_589:
	s_branch .LBB2_592
.LBB2_590:                              ; =>This Inner Loop Header: Depth=1
	v_mov_b32_e32 v0, 1
	s_and_saveexec_b32 s1, s0
	s_cbranch_execz .LBB2_587
; %bb.591:                              ;   in Loop: Header=BB2_590 Depth=1
	global_load_dword v0, v[8:9], off offset:20 glc dlc
	s_waitcnt vmcnt(0)
	buffer_gl1_inv
	buffer_gl0_inv
	v_and_b32_e32 v0, 1, v0
	s_branch .LBB2_587
.LBB2_592:
	global_load_dwordx2 v[3:4], v[10:11], off
	s_and_saveexec_b32 s8, s0
	s_cbranch_execz .LBB2_596
; %bb.593:
	v_mov_b32_e32 v9, 0
	s_clause 0x2
	global_load_dwordx2 v[0:1], v9, s[2:3] offset:40
	global_load_dwordx2 v[12:13], v9, s[2:3] offset:24 glc dlc
	global_load_dwordx2 v[5:6], v9, s[2:3]
	s_waitcnt vmcnt(2)
	v_readfirstlane_b32 s10, v0
	v_readfirstlane_b32 s11, v1
	s_add_u32 s9, s10, 1
	s_addc_u32 s12, s11, 0
	s_add_u32 s0, s9, s6
	s_addc_u32 s1, s12, s7
	s_cmp_eq_u64 s[0:1], 0
	s_cselect_b32 s1, s12, s1
	s_cselect_b32 s0, s9, s0
	v_mov_b32_e32 v11, s1
	s_and_b64 s[6:7], s[0:1], s[10:11]
	v_mov_b32_e32 v10, s0
	s_mul_i32 s7, s7, 24
	s_mul_hi_u32 s9, s6, 24
	s_mul_i32 s6, s6, 24
	s_add_i32 s9, s9, s7
	s_waitcnt vmcnt(0)
	v_add_co_u32 v0, vcc_lo, v5, s6
	v_add_co_ci_u32_e64 v1, null, s9, v6, vcc_lo
	global_store_dwordx2 v[0:1], v[12:13], off
	s_waitcnt_vscnt null, 0x0
	global_atomic_cmpswap_x2 v[7:8], v9, v[10:13], s[2:3] offset:24 glc
	s_waitcnt vmcnt(0)
	v_cmp_ne_u64_e32 vcc_lo, v[7:8], v[12:13]
	s_and_b32 exec_lo, exec_lo, vcc_lo
	s_cbranch_execz .LBB2_596
; %bb.594:
	s_mov_b32 s6, 0
.LBB2_595:                              ; =>This Inner Loop Header: Depth=1
	v_mov_b32_e32 v5, s0
	v_mov_b32_e32 v6, s1
	s_sleep 1
	global_store_dwordx2 v[0:1], v[7:8], off
	s_waitcnt_vscnt null, 0x0
	global_atomic_cmpswap_x2 v[5:6], v9, v[5:8], s[2:3] offset:24 glc
	s_waitcnt vmcnt(0)
	v_cmp_eq_u64_e32 vcc_lo, v[5:6], v[7:8]
	v_mov_b32_e32 v8, v6
	v_mov_b32_e32 v7, v5
	s_or_b32 s6, vcc_lo, s6
	s_andn2_b32 exec_lo, exec_lo, s6
	s_cbranch_execnz .LBB2_595
.LBB2_596:
	s_or_b32 exec_lo, exec_lo, s8
	v_readfirstlane_b32 s0, v31
	v_mov_b32_e32 v0, 0
	v_mov_b32_e32 v1, 0
	v_cmp_eq_u32_e64 s0, s0, v31
	s_and_saveexec_b32 s1, s0
	s_cbranch_execz .LBB2_602
; %bb.597:
	v_mov_b32_e32 v5, 0
	s_mov_b32 s6, exec_lo
	global_load_dwordx2 v[8:9], v5, s[2:3] offset:24 glc dlc
	s_waitcnt vmcnt(0)
	buffer_gl1_inv
	buffer_gl0_inv
	s_clause 0x1
	global_load_dwordx2 v[0:1], v5, s[2:3] offset:40
	global_load_dwordx2 v[6:7], v5, s[2:3]
	s_waitcnt vmcnt(1)
	v_and_b32_e32 v1, v1, v9
	v_and_b32_e32 v0, v0, v8
	v_mul_lo_u32 v1, v1, 24
	v_mul_hi_u32 v10, v0, 24
	v_mul_lo_u32 v0, v0, 24
	v_add_nc_u32_e32 v1, v10, v1
	s_waitcnt vmcnt(0)
	v_add_co_u32 v0, vcc_lo, v6, v0
	v_add_co_ci_u32_e64 v1, null, v7, v1, vcc_lo
	global_load_dwordx2 v[6:7], v[0:1], off glc dlc
	s_waitcnt vmcnt(0)
	global_atomic_cmpswap_x2 v[0:1], v5, v[6:9], s[2:3] offset:24 glc
	s_waitcnt vmcnt(0)
	buffer_gl1_inv
	buffer_gl0_inv
	v_cmpx_ne_u64_e64 v[0:1], v[8:9]
	s_cbranch_execz .LBB2_601
; %bb.598:
	s_mov_b32 s7, 0
	.p2align	6
.LBB2_599:                              ; =>This Inner Loop Header: Depth=1
	s_sleep 1
	s_clause 0x1
	global_load_dwordx2 v[6:7], v5, s[2:3] offset:40
	global_load_dwordx2 v[10:11], v5, s[2:3]
	v_mov_b32_e32 v9, v1
	v_mov_b32_e32 v8, v0
	s_waitcnt vmcnt(1)
	v_and_b32_e32 v0, v6, v8
	v_and_b32_e32 v6, v7, v9
	s_waitcnt vmcnt(0)
	v_mad_u64_u32 v[0:1], null, v0, 24, v[10:11]
	v_mad_u64_u32 v[6:7], null, v6, 24, v[1:2]
	v_mov_b32_e32 v1, v6
	global_load_dwordx2 v[6:7], v[0:1], off glc dlc
	s_waitcnt vmcnt(0)
	global_atomic_cmpswap_x2 v[0:1], v5, v[6:9], s[2:3] offset:24 glc
	s_waitcnt vmcnt(0)
	buffer_gl1_inv
	buffer_gl0_inv
	v_cmp_eq_u64_e32 vcc_lo, v[0:1], v[8:9]
	s_or_b32 s7, vcc_lo, s7
	s_andn2_b32 exec_lo, exec_lo, s7
	s_cbranch_execnz .LBB2_599
; %bb.600:
	s_or_b32 exec_lo, exec_lo, s7
.LBB2_601:
	s_or_b32 exec_lo, exec_lo, s6
.LBB2_602:
	s_or_b32 exec_lo, exec_lo, s1
	v_mov_b32_e32 v6, 0
	v_readfirstlane_b32 s7, v1
	v_readfirstlane_b32 s6, v0
	s_mov_b32 s1, exec_lo
	s_clause 0x1
	global_load_dwordx2 v[11:12], v6, s[2:3] offset:40
	global_load_dwordx4 v[7:10], v6, s[2:3]
	s_waitcnt vmcnt(1)
	v_readfirstlane_b32 s8, v11
	v_readfirstlane_b32 s9, v12
	s_and_b64 s[8:9], s[8:9], s[6:7]
	s_mul_i32 s10, s9, 24
	s_mul_hi_u32 s11, s8, 24
	s_mul_i32 s12, s8, 24
	s_add_i32 s11, s11, s10
	s_waitcnt vmcnt(0)
	v_add_co_u32 v0, vcc_lo, v7, s12
	v_add_co_ci_u32_e64 v1, null, s11, v8, vcc_lo
	s_and_saveexec_b32 s10, s0
	s_cbranch_execz .LBB2_604
; %bb.603:
	v_mov_b32_e32 v5, s1
	v_mov_b32_e32 v12, v6
	;; [unrolled: 1-line block ×5, first 2 shown]
	global_store_dwordx4 v[0:1], v[11:14], off offset:8
.LBB2_604:
	s_or_b32 exec_lo, exec_lo, s10
	s_lshl_b64 s[8:9], s[8:9], 12
	v_lshrrev_b32_e32 v5, 1, v29
	v_add_co_u32 v9, vcc_lo, v9, s8
	v_add_co_ci_u32_e64 v10, null, s9, v10, vcc_lo
	s_mov_b32 s8, 0
	v_add_co_u32 v11, vcc_lo, v9, v30
	s_mov_b32 s11, s8
	s_mov_b32 s9, s8
	;; [unrolled: 1-line block ×3, first 2 shown]
	v_and_or_b32 v3, 0xffffff1f, v3, 32
	v_readfirstlane_b32 s12, v9
	v_readfirstlane_b32 s13, v10
	v_mov_b32_e32 v16, s11
	v_add_co_ci_u32_e64 v12, null, 0, v10, vcc_lo
	v_mov_b32_e32 v15, s10
	v_mov_b32_e32 v14, s9
	;; [unrolled: 1-line block ×3, first 2 shown]
	global_store_dwordx4 v30, v[3:6], s[12:13]
	global_store_dwordx4 v30, v[13:16], s[12:13] offset:16
	global_store_dwordx4 v30, v[13:16], s[12:13] offset:32
	;; [unrolled: 1-line block ×3, first 2 shown]
	s_and_saveexec_b32 s1, s0
	s_cbranch_execz .LBB2_612
; %bb.605:
	v_mov_b32_e32 v13, 0
	v_mov_b32_e32 v14, s6
	;; [unrolled: 1-line block ×3, first 2 shown]
	s_clause 0x1
	global_load_dwordx2 v[16:17], v13, s[2:3] offset:32 glc dlc
	global_load_dwordx2 v[3:4], v13, s[2:3] offset:40
	s_waitcnt vmcnt(0)
	v_readfirstlane_b32 s8, v3
	v_readfirstlane_b32 s9, v4
	s_and_b64 s[8:9], s[8:9], s[6:7]
	s_mul_i32 s9, s9, 24
	s_mul_hi_u32 s10, s8, 24
	s_mul_i32 s8, s8, 24
	s_add_i32 s10, s10, s9
	v_add_co_u32 v3, vcc_lo, v7, s8
	v_add_co_ci_u32_e64 v4, null, s10, v8, vcc_lo
	s_mov_b32 s8, exec_lo
	global_store_dwordx2 v[3:4], v[16:17], off
	s_waitcnt_vscnt null, 0x0
	global_atomic_cmpswap_x2 v[9:10], v13, v[14:17], s[2:3] offset:32 glc
	s_waitcnt vmcnt(0)
	v_cmpx_ne_u64_e64 v[9:10], v[16:17]
	s_cbranch_execz .LBB2_608
; %bb.606:
	s_mov_b32 s9, 0
.LBB2_607:                              ; =>This Inner Loop Header: Depth=1
	v_mov_b32_e32 v7, s6
	v_mov_b32_e32 v8, s7
	s_sleep 1
	global_store_dwordx2 v[3:4], v[9:10], off
	s_waitcnt_vscnt null, 0x0
	global_atomic_cmpswap_x2 v[7:8], v13, v[7:10], s[2:3] offset:32 glc
	s_waitcnt vmcnt(0)
	v_cmp_eq_u64_e32 vcc_lo, v[7:8], v[9:10]
	v_mov_b32_e32 v10, v8
	v_mov_b32_e32 v9, v7
	s_or_b32 s9, vcc_lo, s9
	s_andn2_b32 exec_lo, exec_lo, s9
	s_cbranch_execnz .LBB2_607
.LBB2_608:
	s_or_b32 exec_lo, exec_lo, s8
	v_mov_b32_e32 v8, 0
	s_mov_b32 s9, exec_lo
	s_mov_b32 s8, exec_lo
	v_mbcnt_lo_u32_b32 v7, s9, 0
	global_load_dwordx2 v[3:4], v8, s[2:3] offset:16
	v_cmpx_eq_u32_e32 0, v7
	s_cbranch_execz .LBB2_610
; %bb.609:
	s_bcnt1_i32_b32 s9, s9
	v_mov_b32_e32 v7, s9
	s_waitcnt vmcnt(0)
	global_atomic_add_x2 v[3:4], v[7:8], off offset:8
.LBB2_610:
	s_or_b32 exec_lo, exec_lo, s8
	s_waitcnt vmcnt(0)
	global_load_dwordx2 v[7:8], v[3:4], off offset:16
	s_waitcnt vmcnt(0)
	v_cmp_eq_u64_e32 vcc_lo, 0, v[7:8]
	s_cbranch_vccnz .LBB2_612
; %bb.611:
	global_load_dword v3, v[3:4], off offset:24
	v_mov_b32_e32 v4, 0
	s_waitcnt vmcnt(0)
	v_readfirstlane_b32 s8, v3
	s_waitcnt_vscnt null, 0x0
	global_store_dwordx2 v[7:8], v[3:4], off
	s_and_b32 m0, s8, 0x7fffff
	s_sendmsg sendmsg(MSG_INTERRUPT)
.LBB2_612:
	s_or_b32 exec_lo, exec_lo, s1
	s_branch .LBB2_616
	.p2align	6
.LBB2_613:                              ;   in Loop: Header=BB2_616 Depth=1
	s_or_b32 exec_lo, exec_lo, s1
	v_readfirstlane_b32 s1, v3
	s_cmp_eq_u32 s1, 0
	s_cbranch_scc1 .LBB2_615
; %bb.614:                              ;   in Loop: Header=BB2_616 Depth=1
	s_sleep 1
	s_cbranch_execnz .LBB2_616
	s_branch .LBB2_618
	.p2align	6
.LBB2_615:
	s_branch .LBB2_618
.LBB2_616:                              ; =>This Inner Loop Header: Depth=1
	v_mov_b32_e32 v3, 1
	s_and_saveexec_b32 s1, s0
	s_cbranch_execz .LBB2_613
; %bb.617:                              ;   in Loop: Header=BB2_616 Depth=1
	global_load_dword v3, v[0:1], off offset:20 glc dlc
	s_waitcnt vmcnt(0)
	buffer_gl1_inv
	buffer_gl0_inv
	v_and_b32_e32 v3, 1, v3
	s_branch .LBB2_613
.LBB2_618:
	global_load_dwordx2 v[7:8], v[11:12], off
	s_and_saveexec_b32 s8, s0
	s_cbranch_execz .LBB2_622
; %bb.619:
	v_mov_b32_e32 v3, 0
	s_clause 0x2
	global_load_dwordx2 v[0:1], v3, s[2:3] offset:40
	global_load_dwordx2 v[13:14], v3, s[2:3] offset:24 glc dlc
	global_load_dwordx2 v[9:10], v3, s[2:3]
	s_waitcnt vmcnt(2)
	v_readfirstlane_b32 s10, v0
	v_readfirstlane_b32 s11, v1
	s_add_u32 s9, s10, 1
	s_addc_u32 s12, s11, 0
	s_add_u32 s0, s9, s6
	s_addc_u32 s1, s12, s7
	s_cmp_eq_u64 s[0:1], 0
	s_cselect_b32 s1, s12, s1
	s_cselect_b32 s0, s9, s0
	v_mov_b32_e32 v12, s1
	s_and_b64 s[6:7], s[0:1], s[10:11]
	v_mov_b32_e32 v11, s0
	s_mul_i32 s7, s7, 24
	s_mul_hi_u32 s9, s6, 24
	s_mul_i32 s6, s6, 24
	s_add_i32 s9, s9, s7
	s_waitcnt vmcnt(0)
	v_add_co_u32 v0, vcc_lo, v9, s6
	v_add_co_ci_u32_e64 v1, null, s9, v10, vcc_lo
	global_store_dwordx2 v[0:1], v[13:14], off
	s_waitcnt_vscnt null, 0x0
	global_atomic_cmpswap_x2 v[11:12], v3, v[11:14], s[2:3] offset:24 glc
	s_waitcnt vmcnt(0)
	v_cmp_ne_u64_e32 vcc_lo, v[11:12], v[13:14]
	s_and_b32 exec_lo, exec_lo, vcc_lo
	s_cbranch_execz .LBB2_622
; %bb.620:
	s_mov_b32 s6, 0
.LBB2_621:                              ; =>This Inner Loop Header: Depth=1
	v_mov_b32_e32 v9, s0
	v_mov_b32_e32 v10, s1
	s_sleep 1
	global_store_dwordx2 v[0:1], v[11:12], off
	s_waitcnt_vscnt null, 0x0
	global_atomic_cmpswap_x2 v[9:10], v3, v[9:12], s[2:3] offset:24 glc
	s_waitcnt vmcnt(0)
	v_cmp_eq_u64_e32 vcc_lo, v[9:10], v[11:12]
	v_mov_b32_e32 v12, v10
	v_mov_b32_e32 v11, v9
	s_or_b32 s6, vcc_lo, s6
	s_andn2_b32 exec_lo, exec_lo, s6
	s_cbranch_execnz .LBB2_621
.LBB2_622:
	s_or_b32 exec_lo, exec_lo, s8
	v_readfirstlane_b32 s0, v31
	v_mov_b32_e32 v0, 0
	v_mov_b32_e32 v1, 0
	v_cmp_eq_u32_e64 s0, s0, v31
	s_and_saveexec_b32 s1, s0
	s_cbranch_execz .LBB2_628
; %bb.623:
	v_mov_b32_e32 v3, 0
	s_mov_b32 s6, exec_lo
	global_load_dwordx2 v[11:12], v3, s[2:3] offset:24 glc dlc
	s_waitcnt vmcnt(0)
	buffer_gl1_inv
	buffer_gl0_inv
	s_clause 0x1
	global_load_dwordx2 v[0:1], v3, s[2:3] offset:40
	global_load_dwordx2 v[9:10], v3, s[2:3]
	s_waitcnt vmcnt(1)
	v_and_b32_e32 v1, v1, v12
	v_and_b32_e32 v0, v0, v11
	v_mul_lo_u32 v1, v1, 24
	v_mul_hi_u32 v4, v0, 24
	v_mul_lo_u32 v0, v0, 24
	v_add_nc_u32_e32 v1, v4, v1
	s_waitcnt vmcnt(0)
	v_add_co_u32 v0, vcc_lo, v9, v0
	v_add_co_ci_u32_e64 v1, null, v10, v1, vcc_lo
	global_load_dwordx2 v[9:10], v[0:1], off glc dlc
	s_waitcnt vmcnt(0)
	global_atomic_cmpswap_x2 v[0:1], v3, v[9:12], s[2:3] offset:24 glc
	s_waitcnt vmcnt(0)
	buffer_gl1_inv
	buffer_gl0_inv
	v_cmpx_ne_u64_e64 v[0:1], v[11:12]
	s_cbranch_execz .LBB2_627
; %bb.624:
	s_mov_b32 s7, 0
	.p2align	6
.LBB2_625:                              ; =>This Inner Loop Header: Depth=1
	s_sleep 1
	s_clause 0x1
	global_load_dwordx2 v[9:10], v3, s[2:3] offset:40
	global_load_dwordx2 v[13:14], v3, s[2:3]
	v_mov_b32_e32 v12, v1
	v_mov_b32_e32 v11, v0
	s_waitcnt vmcnt(1)
	v_and_b32_e32 v0, v9, v11
	v_and_b32_e32 v4, v10, v12
	s_waitcnt vmcnt(0)
	v_mad_u64_u32 v[0:1], null, v0, 24, v[13:14]
	v_mad_u64_u32 v[9:10], null, v4, 24, v[1:2]
	v_mov_b32_e32 v1, v9
	global_load_dwordx2 v[9:10], v[0:1], off glc dlc
	s_waitcnt vmcnt(0)
	global_atomic_cmpswap_x2 v[0:1], v3, v[9:12], s[2:3] offset:24 glc
	s_waitcnt vmcnt(0)
	buffer_gl1_inv
	buffer_gl0_inv
	v_cmp_eq_u64_e32 vcc_lo, v[0:1], v[11:12]
	s_or_b32 s7, vcc_lo, s7
	s_andn2_b32 exec_lo, exec_lo, s7
	s_cbranch_execnz .LBB2_625
; %bb.626:
	s_or_b32 exec_lo, exec_lo, s7
.LBB2_627:
	s_or_b32 exec_lo, exec_lo, s6
.LBB2_628:
	s_or_b32 exec_lo, exec_lo, s1
	v_mov_b32_e32 v10, 0
	v_readfirstlane_b32 s7, v1
	v_readfirstlane_b32 s6, v0
	s_mov_b32 s1, exec_lo
	s_clause 0x1
	global_load_dwordx2 v[3:4], v10, s[2:3] offset:40
	global_load_dwordx4 v[11:14], v10, s[2:3]
	s_waitcnt vmcnt(1)
	v_readfirstlane_b32 s8, v3
	v_readfirstlane_b32 s9, v4
	s_and_b64 s[8:9], s[8:9], s[6:7]
	s_mul_i32 s10, s9, 24
	s_mul_hi_u32 s11, s8, 24
	s_mul_i32 s12, s8, 24
	s_add_i32 s11, s11, s10
	s_waitcnt vmcnt(0)
	v_add_co_u32 v0, vcc_lo, v11, s12
	v_add_co_ci_u32_e64 v1, null, s11, v12, vcc_lo
	s_and_saveexec_b32 s10, s0
	s_cbranch_execz .LBB2_630
; %bb.629:
	v_mov_b32_e32 v9, s1
	v_mov_b32_e32 v16, v10
	;; [unrolled: 1-line block ×5, first 2 shown]
	global_store_dwordx4 v[0:1], v[15:18], off offset:8
.LBB2_630:
	s_or_b32 exec_lo, exec_lo, s10
	s_lshl_b64 s[8:9], s[8:9], 12
	s_add_i32 s20, s20, 1
	v_add_co_u32 v3, vcc_lo, v13, s8
	v_add_co_ci_u32_e64 v4, null, s9, v14, vcc_lo
	s_mov_b32 s8, 0
	s_lshr_b32 s1, s20, 1
	s_mov_b32 s11, s8
	s_mov_b32 s9, s8
	;; [unrolled: 1-line block ×3, first 2 shown]
	v_and_or_b32 v7, 0xffffff1d, v7, 34
	v_mov_b32_e32 v9, s1
	v_readfirstlane_b32 s12, v3
	v_readfirstlane_b32 s13, v4
	v_mov_b32_e32 v16, s11
	v_mov_b32_e32 v15, s10
	;; [unrolled: 1-line block ×4, first 2 shown]
	global_store_dwordx4 v30, v[7:10], s[12:13]
	global_store_dwordx4 v30, v[13:16], s[12:13] offset:16
	global_store_dwordx4 v30, v[13:16], s[12:13] offset:32
	global_store_dwordx4 v30, v[13:16], s[12:13] offset:48
	s_and_saveexec_b32 s1, s0
	s_cbranch_execz .LBB2_638
; %bb.631:
	v_mov_b32_e32 v13, 0
	v_mov_b32_e32 v14, s6
	;; [unrolled: 1-line block ×3, first 2 shown]
	s_clause 0x1
	global_load_dwordx2 v[16:17], v13, s[2:3] offset:32 glc dlc
	global_load_dwordx2 v[3:4], v13, s[2:3] offset:40
	s_waitcnt vmcnt(0)
	v_readfirstlane_b32 s8, v3
	v_readfirstlane_b32 s9, v4
	s_and_b64 s[8:9], s[8:9], s[6:7]
	s_mul_i32 s9, s9, 24
	s_mul_hi_u32 s10, s8, 24
	s_mul_i32 s8, s8, 24
	s_add_i32 s10, s10, s9
	v_add_co_u32 v3, vcc_lo, v11, s8
	v_add_co_ci_u32_e64 v4, null, s10, v12, vcc_lo
	s_mov_b32 s8, exec_lo
	global_store_dwordx2 v[3:4], v[16:17], off
	s_waitcnt_vscnt null, 0x0
	global_atomic_cmpswap_x2 v[9:10], v13, v[14:17], s[2:3] offset:32 glc
	s_waitcnt vmcnt(0)
	v_cmpx_ne_u64_e64 v[9:10], v[16:17]
	s_cbranch_execz .LBB2_634
; %bb.632:
	s_mov_b32 s9, 0
.LBB2_633:                              ; =>This Inner Loop Header: Depth=1
	v_mov_b32_e32 v7, s6
	v_mov_b32_e32 v8, s7
	s_sleep 1
	global_store_dwordx2 v[3:4], v[9:10], off
	s_waitcnt_vscnt null, 0x0
	global_atomic_cmpswap_x2 v[7:8], v13, v[7:10], s[2:3] offset:32 glc
	s_waitcnt vmcnt(0)
	v_cmp_eq_u64_e32 vcc_lo, v[7:8], v[9:10]
	v_mov_b32_e32 v10, v8
	v_mov_b32_e32 v9, v7
	s_or_b32 s9, vcc_lo, s9
	s_andn2_b32 exec_lo, exec_lo, s9
	s_cbranch_execnz .LBB2_633
.LBB2_634:
	s_or_b32 exec_lo, exec_lo, s8
	v_mov_b32_e32 v8, 0
	s_mov_b32 s9, exec_lo
	s_mov_b32 s8, exec_lo
	v_mbcnt_lo_u32_b32 v7, s9, 0
	global_load_dwordx2 v[3:4], v8, s[2:3] offset:16
	v_cmpx_eq_u32_e32 0, v7
	s_cbranch_execz .LBB2_636
; %bb.635:
	s_bcnt1_i32_b32 s9, s9
	v_mov_b32_e32 v7, s9
	s_waitcnt vmcnt(0)
	global_atomic_add_x2 v[3:4], v[7:8], off offset:8
.LBB2_636:
	s_or_b32 exec_lo, exec_lo, s8
	s_waitcnt vmcnt(0)
	global_load_dwordx2 v[7:8], v[3:4], off offset:16
	s_waitcnt vmcnt(0)
	v_cmp_eq_u64_e32 vcc_lo, 0, v[7:8]
	s_cbranch_vccnz .LBB2_638
; %bb.637:
	global_load_dword v3, v[3:4], off offset:24
	v_mov_b32_e32 v4, 0
	s_waitcnt vmcnt(0)
	v_readfirstlane_b32 s8, v3
	s_waitcnt_vscnt null, 0x0
	global_store_dwordx2 v[7:8], v[3:4], off
	s_and_b32 m0, s8, 0x7fffff
	s_sendmsg sendmsg(MSG_INTERRUPT)
.LBB2_638:
	s_or_b32 exec_lo, exec_lo, s1
	s_branch .LBB2_642
	.p2align	6
.LBB2_639:                              ;   in Loop: Header=BB2_642 Depth=1
	s_or_b32 exec_lo, exec_lo, s1
	v_readfirstlane_b32 s1, v3
	s_cmp_eq_u32 s1, 0
	s_cbranch_scc1 .LBB2_641
; %bb.640:                              ;   in Loop: Header=BB2_642 Depth=1
	s_sleep 1
	s_cbranch_execnz .LBB2_642
	s_branch .LBB2_644
	.p2align	6
.LBB2_641:
	s_branch .LBB2_644
.LBB2_642:                              ; =>This Inner Loop Header: Depth=1
	v_mov_b32_e32 v3, 1
	s_and_saveexec_b32 s1, s0
	s_cbranch_execz .LBB2_639
; %bb.643:                              ;   in Loop: Header=BB2_642 Depth=1
	global_load_dword v3, v[0:1], off offset:20 glc dlc
	s_waitcnt vmcnt(0)
	buffer_gl1_inv
	buffer_gl0_inv
	v_and_b32_e32 v3, 1, v3
	s_branch .LBB2_639
.LBB2_644:
	s_and_saveexec_b32 s8, s0
	s_cbranch_execz .LBB2_648
; %bb.645:
	v_mov_b32_e32 v3, 0
	s_clause 0x2
	global_load_dwordx2 v[0:1], v3, s[2:3] offset:40
	global_load_dwordx2 v[11:12], v3, s[2:3] offset:24 glc dlc
	global_load_dwordx2 v[7:8], v3, s[2:3]
	s_waitcnt vmcnt(2)
	v_readfirstlane_b32 s10, v0
	v_readfirstlane_b32 s11, v1
	s_add_u32 s9, s10, 1
	s_addc_u32 s12, s11, 0
	s_add_u32 s0, s9, s6
	s_addc_u32 s1, s12, s7
	s_cmp_eq_u64 s[0:1], 0
	s_cselect_b32 s1, s12, s1
	s_cselect_b32 s0, s9, s0
	v_mov_b32_e32 v10, s1
	s_and_b64 s[6:7], s[0:1], s[10:11]
	v_mov_b32_e32 v9, s0
	s_mul_i32 s7, s7, 24
	s_mul_hi_u32 s9, s6, 24
	s_mul_i32 s6, s6, 24
	s_add_i32 s9, s9, s7
	s_waitcnt vmcnt(0)
	v_add_co_u32 v0, vcc_lo, v7, s6
	v_add_co_ci_u32_e64 v1, null, s9, v8, vcc_lo
	global_store_dwordx2 v[0:1], v[11:12], off
	s_waitcnt_vscnt null, 0x0
	global_atomic_cmpswap_x2 v[9:10], v3, v[9:12], s[2:3] offset:24 glc
	s_waitcnt vmcnt(0)
	v_cmp_ne_u64_e32 vcc_lo, v[9:10], v[11:12]
	s_and_b32 exec_lo, exec_lo, vcc_lo
	s_cbranch_execz .LBB2_648
; %bb.646:
	s_mov_b32 s6, 0
.LBB2_647:                              ; =>This Inner Loop Header: Depth=1
	v_mov_b32_e32 v7, s0
	v_mov_b32_e32 v8, s1
	s_sleep 1
	global_store_dwordx2 v[0:1], v[9:10], off
	s_waitcnt_vscnt null, 0x0
	global_atomic_cmpswap_x2 v[7:8], v3, v[7:10], s[2:3] offset:24 glc
	s_waitcnt vmcnt(0)
	v_cmp_eq_u64_e32 vcc_lo, v[7:8], v[9:10]
	v_mov_b32_e32 v10, v8
	v_mov_b32_e32 v9, v7
	s_or_b32 s6, vcc_lo, s6
	s_andn2_b32 exec_lo, exec_lo, s6
	s_cbranch_execnz .LBB2_647
.LBB2_648:
	s_or_b32 exec_lo, exec_lo, s8
	s_load_dwordx2 s[0:1], s[4:5], 0x0
	v_lshlrev_b64 v[0:1], 2, v[5:6]
	s_waitcnt lgkmcnt(0)
	v_add_co_u32 v0, vcc_lo, s0, v0
	v_add_co_ci_u32_e64 v1, null, s1, v1, vcc_lo
	global_store_dword v[0:1], v2, off
	s_endpgm
	.section	.rodata,"a",@progbits
	.p2align	6, 0x0
	.amdhsa_kernel _Z32kernel_cg_group_partition_staticILj2EEvPibS0_
		.amdhsa_group_segment_fixed_size 0
		.amdhsa_private_segment_fixed_size 0
		.amdhsa_kernarg_size 280
		.amdhsa_user_sgpr_count 6
		.amdhsa_user_sgpr_private_segment_buffer 1
		.amdhsa_user_sgpr_dispatch_ptr 0
		.amdhsa_user_sgpr_queue_ptr 0
		.amdhsa_user_sgpr_kernarg_segment_ptr 1
		.amdhsa_user_sgpr_dispatch_id 0
		.amdhsa_user_sgpr_flat_scratch_init 0
		.amdhsa_user_sgpr_private_segment_size 0
		.amdhsa_wavefront_size32 1
		.amdhsa_uses_dynamic_stack 0
		.amdhsa_system_sgpr_private_segment_wavefront_offset 0
		.amdhsa_system_sgpr_workgroup_id_x 1
		.amdhsa_system_sgpr_workgroup_id_y 0
		.amdhsa_system_sgpr_workgroup_id_z 0
		.amdhsa_system_sgpr_workgroup_info 0
		.amdhsa_system_vgpr_workitem_id 2
		.amdhsa_next_free_vgpr 35
		.amdhsa_next_free_sgpr 28
		.amdhsa_reserve_vcc 1
		.amdhsa_reserve_flat_scratch 0
		.amdhsa_float_round_mode_32 0
		.amdhsa_float_round_mode_16_64 0
		.amdhsa_float_denorm_mode_32 3
		.amdhsa_float_denorm_mode_16_64 3
		.amdhsa_dx10_clamp 1
		.amdhsa_ieee_mode 1
		.amdhsa_fp16_overflow 0
		.amdhsa_workgroup_processor_mode 1
		.amdhsa_memory_ordered 1
		.amdhsa_forward_progress 1
		.amdhsa_shared_vgpr_count 0
		.amdhsa_exception_fp_ieee_invalid_op 0
		.amdhsa_exception_fp_denorm_src 0
		.amdhsa_exception_fp_ieee_div_zero 0
		.amdhsa_exception_fp_ieee_overflow 0
		.amdhsa_exception_fp_ieee_underflow 0
		.amdhsa_exception_fp_ieee_inexact 0
		.amdhsa_exception_int_div_zero 0
	.end_amdhsa_kernel
	.section	.text._Z32kernel_cg_group_partition_staticILj2EEvPibS0_,"axG",@progbits,_Z32kernel_cg_group_partition_staticILj2EEvPibS0_,comdat
.Lfunc_end2:
	.size	_Z32kernel_cg_group_partition_staticILj2EEvPibS0_, .Lfunc_end2-_Z32kernel_cg_group_partition_staticILj2EEvPibS0_
                                        ; -- End function
	.set _Z32kernel_cg_group_partition_staticILj2EEvPibS0_.num_vgpr, 35
	.set _Z32kernel_cg_group_partition_staticILj2EEvPibS0_.num_agpr, 0
	.set _Z32kernel_cg_group_partition_staticILj2EEvPibS0_.numbered_sgpr, 28
	.set _Z32kernel_cg_group_partition_staticILj2EEvPibS0_.num_named_barrier, 0
	.set _Z32kernel_cg_group_partition_staticILj2EEvPibS0_.private_seg_size, 0
	.set _Z32kernel_cg_group_partition_staticILj2EEvPibS0_.uses_vcc, 1
	.set _Z32kernel_cg_group_partition_staticILj2EEvPibS0_.uses_flat_scratch, 0
	.set _Z32kernel_cg_group_partition_staticILj2EEvPibS0_.has_dyn_sized_stack, 0
	.set _Z32kernel_cg_group_partition_staticILj2EEvPibS0_.has_recursion, 0
	.set _Z32kernel_cg_group_partition_staticILj2EEvPibS0_.has_indirect_call, 0
	.section	.AMDGPU.csdata,"",@progbits
; Kernel info:
; codeLenInByte = 27980
; TotalNumSgprs: 30
; NumVgprs: 35
; ScratchSize: 0
; MemoryBound: 0
; FloatMode: 240
; IeeeMode: 1
; LDSByteSize: 0 bytes/workgroup (compile time only)
; SGPRBlocks: 0
; VGPRBlocks: 4
; NumSGPRsForWavesPerEU: 30
; NumVGPRsForWavesPerEU: 35
; Occupancy: 16
; WaveLimiterHint : 1
; COMPUTE_PGM_RSRC2:SCRATCH_EN: 0
; COMPUTE_PGM_RSRC2:USER_SGPR: 6
; COMPUTE_PGM_RSRC2:TRAP_HANDLER: 0
; COMPUTE_PGM_RSRC2:TGID_X_EN: 1
; COMPUTE_PGM_RSRC2:TGID_Y_EN: 0
; COMPUTE_PGM_RSRC2:TGID_Z_EN: 0
; COMPUTE_PGM_RSRC2:TIDIG_COMP_CNT: 2
	.section	.text._Z32kernel_cg_group_partition_staticILj4EEvPibS0_,"axG",@progbits,_Z32kernel_cg_group_partition_staticILj4EEvPibS0_,comdat
	.protected	_Z32kernel_cg_group_partition_staticILj4EEvPibS0_ ; -- Begin function _Z32kernel_cg_group_partition_staticILj4EEvPibS0_
	.globl	_Z32kernel_cg_group_partition_staticILj4EEvPibS0_
	.p2align	8
	.type	_Z32kernel_cg_group_partition_staticILj4EEvPibS0_,@function
_Z32kernel_cg_group_partition_staticILj4EEvPibS0_: ; @_Z32kernel_cg_group_partition_staticILj4EEvPibS0_
; %bb.0:
	s_mov_b64 s[0:1], src_shared_base
	s_clause 0x2
	s_load_dword s0, s[4:5], 0x8
	s_load_dwordx2 s[6:7], s[4:5], 0x24
	s_load_dwordx2 s[8:9], s[4:5], 0x10
	s_waitcnt lgkmcnt(0)
	s_and_b32 s0, 1, s0
	s_add_u32 s2, s4, 24
	s_addc_u32 s3, s5, 0
	s_lshr_b32 s10, s6, 16
	s_and_b32 s6, s6, 0xffff
	v_mad_u32_u24 v1, v2, s10, v1
	s_and_b32 s7, s7, 0xffff
	s_cmp_lg_u32 0, -1
	s_mul_i32 s20, s10, s6
	s_cselect_b32 s11, 0, 0
	v_mad_u64_u32 v[26:27], null, v1, s6, v[0:1]
	s_cselect_b32 s1, s1, 0
	s_cmp_eq_u32 s0, 1
	s_mul_i32 s20, s20, s7
	s_cselect_b32 s21, s9, s1
	s_cselect_b32 s22, s8, s11
	s_cmp_lt_u32 s20, 2
	v_mov_b32_e32 v29, v26
	v_mov_b32_e32 v32, v26
	s_mov_b32 s1, 0
	s_cbranch_scc1 .LBB3_6
; %bb.1:
	v_ashrrev_i32_e32 v27, 31, v26
	v_mov_b32_e32 v32, v29
	s_mov_b32 s6, s20
	v_lshlrev_b64 v[0:1], 2, v[26:27]
	v_add_co_u32 v0, vcc_lo, s22, v0
	v_add_co_ci_u32_e64 v1, null, s21, v1, vcc_lo
	.p2align	6
.LBB3_2:                                ; =>This Inner Loop Header: Depth=1
	s_lshr_b32 s0, s6, 1
	s_mov_b32 s7, exec_lo
	flat_store_dword v[0:1], v32
	s_waitcnt lgkmcnt(0)
	s_waitcnt_vscnt null, 0x0
	s_barrier
	buffer_gl0_inv
	v_cmpx_gt_i32_e64 s0, v26
	s_cbranch_execz .LBB3_4
; %bb.3:                                ;   in Loop: Header=BB3_2 Depth=1
	s_lshl_b64 s[8:9], s[0:1], 2
	v_add_co_u32 v2, vcc_lo, v0, s8
	v_add_co_ci_u32_e64 v3, null, s9, v1, vcc_lo
	flat_load_dword v2, v[2:3]
	s_waitcnt vmcnt(0) lgkmcnt(0)
	v_add_nc_u32_e32 v32, v2, v32
.LBB3_4:                                ;   in Loop: Header=BB3_2 Depth=1
	s_or_b32 exec_lo, exec_lo, s7
	s_cmp_gt_u32 s6, 3
	s_barrier
	buffer_gl0_inv
	s_cbranch_scc0 .LBB3_6
; %bb.5:                                ;   in Loop: Header=BB3_2 Depth=1
	s_mov_b32 s6, s0
	s_branch .LBB3_2
.LBB3_6:
	v_cmp_eq_u32_e64 s0, 0, v26
	s_and_saveexec_b32 s23, s0
	s_cbranch_execz .LBB3_402
; %bb.7:
	s_load_dwordx2 s[6:7], s[2:3], 0x50
	v_mbcnt_lo_u32_b32 v31, -1, 0
	v_mov_b32_e32 v6, 0
	v_mov_b32_e32 v7, 0
	v_readfirstlane_b32 s1, v31
	v_cmp_eq_u32_e64 s1, s1, v31
	s_and_saveexec_b32 s8, s1
	s_cbranch_execz .LBB3_13
; %bb.8:
	v_mov_b32_e32 v0, 0
	s_mov_b32 s9, exec_lo
	s_waitcnt lgkmcnt(0)
	global_load_dwordx2 v[3:4], v0, s[6:7] offset:24 glc dlc
	s_waitcnt vmcnt(0)
	buffer_gl1_inv
	buffer_gl0_inv
	s_clause 0x1
	global_load_dwordx2 v[1:2], v0, s[6:7] offset:40
	global_load_dwordx2 v[5:6], v0, s[6:7]
	s_waitcnt vmcnt(1)
	v_and_b32_e32 v2, v2, v4
	v_and_b32_e32 v1, v1, v3
	v_mul_lo_u32 v2, v2, 24
	v_mul_hi_u32 v7, v1, 24
	v_mul_lo_u32 v1, v1, 24
	v_add_nc_u32_e32 v2, v7, v2
	s_waitcnt vmcnt(0)
	v_add_co_u32 v1, vcc_lo, v5, v1
	v_add_co_ci_u32_e64 v2, null, v6, v2, vcc_lo
	global_load_dwordx2 v[1:2], v[1:2], off glc dlc
	s_waitcnt vmcnt(0)
	global_atomic_cmpswap_x2 v[6:7], v0, v[1:4], s[6:7] offset:24 glc
	s_waitcnt vmcnt(0)
	buffer_gl1_inv
	buffer_gl0_inv
	v_cmpx_ne_u64_e64 v[6:7], v[3:4]
	s_cbranch_execz .LBB3_12
; %bb.9:
	s_mov_b32 s10, 0
	.p2align	6
.LBB3_10:                               ; =>This Inner Loop Header: Depth=1
	s_sleep 1
	s_clause 0x1
	global_load_dwordx2 v[1:2], v0, s[6:7] offset:40
	global_load_dwordx2 v[8:9], v0, s[6:7]
	v_mov_b32_e32 v3, v6
	v_mov_b32_e32 v4, v7
	s_waitcnt vmcnt(1)
	v_and_b32_e32 v1, v1, v3
	v_and_b32_e32 v2, v2, v4
	s_waitcnt vmcnt(0)
	v_mad_u64_u32 v[5:6], null, v1, 24, v[8:9]
	v_mov_b32_e32 v1, v6
	v_mad_u64_u32 v[1:2], null, v2, 24, v[1:2]
	v_mov_b32_e32 v6, v1
	global_load_dwordx2 v[1:2], v[5:6], off glc dlc
	s_waitcnt vmcnt(0)
	global_atomic_cmpswap_x2 v[6:7], v0, v[1:4], s[6:7] offset:24 glc
	s_waitcnt vmcnt(0)
	buffer_gl1_inv
	buffer_gl0_inv
	v_cmp_eq_u64_e32 vcc_lo, v[6:7], v[3:4]
	s_or_b32 s10, vcc_lo, s10
	s_andn2_b32 exec_lo, exec_lo, s10
	s_cbranch_execnz .LBB3_10
; %bb.11:
	s_or_b32 exec_lo, exec_lo, s10
.LBB3_12:
	s_or_b32 exec_lo, exec_lo, s9
.LBB3_13:
	s_or_b32 exec_lo, exec_lo, s8
	v_mov_b32_e32 v5, 0
	v_readfirstlane_b32 s9, v7
	v_readfirstlane_b32 s8, v6
	s_mov_b32 s12, exec_lo
	s_waitcnt lgkmcnt(0)
	s_clause 0x1
	global_load_dwordx2 v[8:9], v5, s[6:7] offset:40
	global_load_dwordx4 v[0:3], v5, s[6:7]
	s_waitcnt vmcnt(1)
	v_readfirstlane_b32 s10, v8
	v_readfirstlane_b32 s11, v9
	s_and_b64 s[10:11], s[10:11], s[8:9]
	s_mul_i32 s13, s11, 24
	s_mul_hi_u32 s14, s10, 24
	s_mul_i32 s15, s10, 24
	s_add_i32 s14, s14, s13
	s_waitcnt vmcnt(0)
	v_add_co_u32 v8, vcc_lo, v0, s15
	v_add_co_ci_u32_e64 v9, null, s14, v1, vcc_lo
	s_and_saveexec_b32 s13, s1
	s_cbranch_execz .LBB3_15
; %bb.14:
	v_mov_b32_e32 v4, s12
	v_mov_b32_e32 v6, 2
	;; [unrolled: 1-line block ×3, first 2 shown]
	global_store_dwordx4 v[8:9], v[4:7], off offset:8
.LBB3_15:
	s_or_b32 exec_lo, exec_lo, s13
	s_lshl_b64 s[10:11], s[10:11], 12
	v_lshlrev_b32_e32 v30, 6, v31
	v_add_co_u32 v2, vcc_lo, v2, s10
	v_add_co_ci_u32_e64 v3, null, s11, v3, vcc_lo
	s_mov_b32 s12, 0
	v_add_co_u32 v10, vcc_lo, v2, v30
	s_mov_b32 s13, s12
	s_mov_b32 s14, s12
	;; [unrolled: 1-line block ×3, first 2 shown]
	v_mov_b32_e32 v4, 33
	v_mov_b32_e32 v6, v5
	;; [unrolled: 1-line block ×3, first 2 shown]
	v_readfirstlane_b32 s10, v2
	v_readfirstlane_b32 s11, v3
	v_mov_b32_e32 v12, s12
	v_add_co_ci_u32_e64 v11, null, 0, v3, vcc_lo
	v_mov_b32_e32 v13, s13
	v_mov_b32_e32 v14, s14
	;; [unrolled: 1-line block ×3, first 2 shown]
	global_store_dwordx4 v30, v[4:7], s[10:11]
	global_store_dwordx4 v30, v[12:15], s[10:11] offset:16
	global_store_dwordx4 v30, v[12:15], s[10:11] offset:32
	;; [unrolled: 1-line block ×3, first 2 shown]
	s_and_saveexec_b32 s10, s1
	s_cbranch_execz .LBB3_22
; %bb.16:
	v_mov_b32_e32 v6, 0
	v_mov_b32_e32 v12, s8
	;; [unrolled: 1-line block ×3, first 2 shown]
	s_mov_b32 s11, exec_lo
	s_clause 0x1
	global_load_dwordx2 v[14:15], v6, s[6:7] offset:32 glc dlc
	global_load_dwordx2 v[2:3], v6, s[6:7] offset:40
	s_waitcnt vmcnt(0)
	v_and_b32_e32 v3, s9, v3
	v_and_b32_e32 v2, s8, v2
	v_mul_lo_u32 v3, v3, 24
	v_mul_hi_u32 v4, v2, 24
	v_mul_lo_u32 v2, v2, 24
	v_add_nc_u32_e32 v3, v4, v3
	v_add_co_u32 v4, vcc_lo, v0, v2
	v_add_co_ci_u32_e64 v5, null, v1, v3, vcc_lo
	global_store_dwordx2 v[4:5], v[14:15], off
	s_waitcnt_vscnt null, 0x0
	global_atomic_cmpswap_x2 v[2:3], v6, v[12:15], s[6:7] offset:32 glc
	s_waitcnt vmcnt(0)
	v_cmpx_ne_u64_e64 v[2:3], v[14:15]
	s_cbranch_execz .LBB3_18
.LBB3_17:                               ; =>This Inner Loop Header: Depth=1
	v_mov_b32_e32 v0, s8
	v_mov_b32_e32 v1, s9
	s_sleep 1
	global_store_dwordx2 v[4:5], v[2:3], off
	s_waitcnt_vscnt null, 0x0
	global_atomic_cmpswap_x2 v[0:1], v6, v[0:3], s[6:7] offset:32 glc
	s_waitcnt vmcnt(0)
	v_cmp_eq_u64_e32 vcc_lo, v[0:1], v[2:3]
	v_mov_b32_e32 v3, v1
	v_mov_b32_e32 v2, v0
	s_or_b32 s12, vcc_lo, s12
	s_andn2_b32 exec_lo, exec_lo, s12
	s_cbranch_execnz .LBB3_17
.LBB3_18:
	s_or_b32 exec_lo, exec_lo, s11
	v_mov_b32_e32 v3, 0
	s_mov_b32 s12, exec_lo
	s_mov_b32 s11, exec_lo
	v_mbcnt_lo_u32_b32 v2, s12, 0
	global_load_dwordx2 v[0:1], v3, s[6:7] offset:16
	v_cmpx_eq_u32_e32 0, v2
	s_cbranch_execz .LBB3_20
; %bb.19:
	s_bcnt1_i32_b32 s12, s12
	v_mov_b32_e32 v2, s12
	s_waitcnt vmcnt(0)
	global_atomic_add_x2 v[0:1], v[2:3], off offset:8
.LBB3_20:
	s_or_b32 exec_lo, exec_lo, s11
	s_waitcnt vmcnt(0)
	global_load_dwordx2 v[2:3], v[0:1], off offset:16
	s_waitcnt vmcnt(0)
	v_cmp_eq_u64_e32 vcc_lo, 0, v[2:3]
	s_cbranch_vccnz .LBB3_22
; %bb.21:
	global_load_dword v0, v[0:1], off offset:24
	v_mov_b32_e32 v1, 0
	s_waitcnt vmcnt(0)
	v_readfirstlane_b32 s11, v0
	s_waitcnt_vscnt null, 0x0
	global_store_dwordx2 v[2:3], v[0:1], off
	s_and_b32 m0, s11, 0x7fffff
	s_sendmsg sendmsg(MSG_INTERRUPT)
.LBB3_22:
	s_or_b32 exec_lo, exec_lo, s10
	s_branch .LBB3_26
	.p2align	6
.LBB3_23:                               ;   in Loop: Header=BB3_26 Depth=1
	s_or_b32 exec_lo, exec_lo, s10
	v_readfirstlane_b32 s10, v0
	s_cmp_eq_u32 s10, 0
	s_cbranch_scc1 .LBB3_25
; %bb.24:                               ;   in Loop: Header=BB3_26 Depth=1
	s_sleep 1
	s_cbranch_execnz .LBB3_26
	s_branch .LBB3_28
	.p2align	6
.LBB3_25:
	s_branch .LBB3_28
.LBB3_26:                               ; =>This Inner Loop Header: Depth=1
	v_mov_b32_e32 v0, 1
	s_and_saveexec_b32 s10, s1
	s_cbranch_execz .LBB3_23
; %bb.27:                               ;   in Loop: Header=BB3_26 Depth=1
	global_load_dword v0, v[8:9], off offset:20 glc dlc
	s_waitcnt vmcnt(0)
	buffer_gl1_inv
	buffer_gl0_inv
	v_and_b32_e32 v0, 1, v0
	s_branch .LBB3_23
.LBB3_28:
	global_load_dwordx2 v[0:1], v[10:11], off
	s_and_saveexec_b32 s10, s1
	s_cbranch_execz .LBB3_32
; %bb.29:
	v_mov_b32_e32 v8, 0
	s_clause 0x2
	global_load_dwordx2 v[2:3], v8, s[6:7] offset:40
	global_load_dwordx2 v[11:12], v8, s[6:7] offset:24 glc dlc
	global_load_dwordx2 v[4:5], v8, s[6:7]
	s_waitcnt vmcnt(2)
	v_readfirstlane_b32 s12, v2
	v_readfirstlane_b32 s13, v3
	s_add_u32 s1, s12, 1
	s_addc_u32 s11, s13, 0
	s_add_u32 s8, s1, s8
	s_addc_u32 s9, s11, s9
	s_cmp_eq_u64 s[8:9], 0
	s_cselect_b32 s9, s11, s9
	s_cselect_b32 s8, s1, s8
	v_mov_b32_e32 v10, s9
	s_and_b64 s[12:13], s[8:9], s[12:13]
	v_mov_b32_e32 v9, s8
	s_mul_i32 s1, s13, 24
	s_mul_hi_u32 s11, s12, 24
	s_mul_i32 s12, s12, 24
	s_add_i32 s11, s11, s1
	s_waitcnt vmcnt(0)
	v_add_co_u32 v6, vcc_lo, v4, s12
	v_add_co_ci_u32_e64 v7, null, s11, v5, vcc_lo
	global_store_dwordx2 v[6:7], v[11:12], off
	s_waitcnt_vscnt null, 0x0
	global_atomic_cmpswap_x2 v[4:5], v8, v[9:12], s[6:7] offset:24 glc
	s_waitcnt vmcnt(0)
	v_cmp_ne_u64_e32 vcc_lo, v[4:5], v[11:12]
	s_and_b32 exec_lo, exec_lo, vcc_lo
	s_cbranch_execz .LBB3_32
; %bb.30:
	s_mov_b32 s1, 0
.LBB3_31:                               ; =>This Inner Loop Header: Depth=1
	v_mov_b32_e32 v2, s8
	v_mov_b32_e32 v3, s9
	s_sleep 1
	global_store_dwordx2 v[6:7], v[4:5], off
	s_waitcnt_vscnt null, 0x0
	global_atomic_cmpswap_x2 v[2:3], v8, v[2:5], s[6:7] offset:24 glc
	s_waitcnt vmcnt(0)
	v_cmp_eq_u64_e32 vcc_lo, v[2:3], v[4:5]
	v_mov_b32_e32 v5, v3
	v_mov_b32_e32 v4, v2
	s_or_b32 s1, vcc_lo, s1
	s_andn2_b32 exec_lo, exec_lo, s1
	s_cbranch_execnz .LBB3_31
.LBB3_32:
	s_or_b32 exec_lo, exec_lo, s10
	s_getpc_b64 s[8:9]
	s_add_u32 s8, s8, .str.8@rel32@lo+4
	s_addc_u32 s9, s9, .str.8@rel32@hi+12
	s_cmp_lg_u64 s[8:9], 0
	s_cbranch_scc0 .LBB3_111
; %bb.33:
	s_waitcnt vmcnt(0)
	v_and_b32_e32 v33, 2, v0
	v_mov_b32_e32 v7, 0
	v_and_b32_e32 v2, -3, v0
	v_mov_b32_e32 v3, v1
	v_mov_b32_e32 v8, 2
	;; [unrolled: 1-line block ×3, first 2 shown]
	s_mov_b64 s[10:11], 0x4d
	s_branch .LBB3_35
.LBB3_34:                               ;   in Loop: Header=BB3_35 Depth=1
	s_or_b32 exec_lo, exec_lo, s16
	s_sub_u32 s10, s10, s12
	s_subb_u32 s11, s11, s13
	s_add_u32 s8, s8, s12
	s_addc_u32 s9, s9, s13
	s_cmp_lg_u64 s[10:11], 0
	s_cbranch_scc0 .LBB3_110
.LBB3_35:                               ; =>This Loop Header: Depth=1
                                        ;     Child Loop BB3_38 Depth 2
                                        ;     Child Loop BB3_45 Depth 2
	;; [unrolled: 1-line block ×11, first 2 shown]
	v_cmp_lt_u64_e64 s1, s[10:11], 56
	v_cmp_gt_u64_e64 s16, s[10:11], 7
	s_and_b32 s1, s1, exec_lo
	s_cselect_b32 s13, s11, 0
	s_cselect_b32 s12, s10, 56
	s_add_u32 s14, s8, 8
	s_addc_u32 s15, s9, 0
	s_and_b32 vcc_lo, exec_lo, s16
	s_cbranch_vccnz .LBB3_40
; %bb.36:                               ;   in Loop: Header=BB3_35 Depth=1
	v_mov_b32_e32 v4, 0
	v_mov_b32_e32 v5, 0
	s_cmp_eq_u64 s[10:11], 0
	s_cbranch_scc1 .LBB3_39
; %bb.37:                               ;   in Loop: Header=BB3_35 Depth=1
	s_lshl_b64 s[14:15], s[12:13], 3
	s_mov_b64 s[16:17], 0
	s_mov_b64 s[18:19], s[8:9]
.LBB3_38:                               ;   Parent Loop BB3_35 Depth=1
                                        ; =>  This Inner Loop Header: Depth=2
	global_load_ubyte v6, v7, s[18:19]
	s_waitcnt vmcnt(0)
	v_and_b32_e32 v6, 0xffff, v6
	v_lshlrev_b64 v[10:11], s16, v[6:7]
	s_add_u32 s16, s16, 8
	s_addc_u32 s17, s17, 0
	s_add_u32 s18, s18, 1
	s_addc_u32 s19, s19, 0
	s_cmp_lg_u32 s14, s16
	v_or_b32_e32 v4, v10, v4
	v_or_b32_e32 v5, v11, v5
	s_cbranch_scc1 .LBB3_38
.LBB3_39:                               ;   in Loop: Header=BB3_35 Depth=1
	s_mov_b64 s[14:15], s[8:9]
	s_mov_b32 s1, 0
	s_cbranch_execz .LBB3_41
	s_branch .LBB3_42
.LBB3_40:                               ;   in Loop: Header=BB3_35 Depth=1
	s_mov_b32 s1, 0
.LBB3_41:                               ;   in Loop: Header=BB3_35 Depth=1
	global_load_dwordx2 v[4:5], v7, s[8:9]
	s_add_i32 s1, s12, -8
.LBB3_42:                               ;   in Loop: Header=BB3_35 Depth=1
	s_add_u32 s16, s14, 8
	s_addc_u32 s17, s15, 0
	s_cmp_gt_u32 s1, 7
	s_cbranch_scc1 .LBB3_47
; %bb.43:                               ;   in Loop: Header=BB3_35 Depth=1
	v_mov_b32_e32 v10, 0
	v_mov_b32_e32 v11, 0
	s_cmp_eq_u32 s1, 0
	s_cbranch_scc1 .LBB3_46
; %bb.44:                               ;   in Loop: Header=BB3_35 Depth=1
	s_mov_b64 s[16:17], 0
	s_mov_b64 s[18:19], 0
.LBB3_45:                               ;   Parent Loop BB3_35 Depth=1
                                        ; =>  This Inner Loop Header: Depth=2
	s_add_u32 s24, s14, s18
	s_addc_u32 s25, s15, s19
	s_add_u32 s18, s18, 1
	global_load_ubyte v6, v7, s[24:25]
	s_addc_u32 s19, s19, 0
	s_waitcnt vmcnt(0)
	v_and_b32_e32 v6, 0xffff, v6
	v_lshlrev_b64 v[12:13], s16, v[6:7]
	s_add_u32 s16, s16, 8
	s_addc_u32 s17, s17, 0
	s_cmp_lg_u32 s1, s18
	v_or_b32_e32 v10, v12, v10
	v_or_b32_e32 v11, v13, v11
	s_cbranch_scc1 .LBB3_45
.LBB3_46:                               ;   in Loop: Header=BB3_35 Depth=1
	s_mov_b64 s[16:17], s[14:15]
	s_mov_b32 s24, 0
	s_cbranch_execz .LBB3_48
	s_branch .LBB3_49
.LBB3_47:                               ;   in Loop: Header=BB3_35 Depth=1
                                        ; implicit-def: $vgpr10_vgpr11
	s_mov_b32 s24, 0
.LBB3_48:                               ;   in Loop: Header=BB3_35 Depth=1
	global_load_dwordx2 v[10:11], v7, s[14:15]
	s_add_i32 s24, s1, -8
.LBB3_49:                               ;   in Loop: Header=BB3_35 Depth=1
	s_add_u32 s14, s16, 8
	s_addc_u32 s15, s17, 0
	s_cmp_gt_u32 s24, 7
	s_cbranch_scc1 .LBB3_54
; %bb.50:                               ;   in Loop: Header=BB3_35 Depth=1
	v_mov_b32_e32 v12, 0
	v_mov_b32_e32 v13, 0
	s_cmp_eq_u32 s24, 0
	s_cbranch_scc1 .LBB3_53
; %bb.51:                               ;   in Loop: Header=BB3_35 Depth=1
	s_mov_b64 s[14:15], 0
	s_mov_b64 s[18:19], 0
.LBB3_52:                               ;   Parent Loop BB3_35 Depth=1
                                        ; =>  This Inner Loop Header: Depth=2
	s_add_u32 s26, s16, s18
	s_addc_u32 s27, s17, s19
	s_add_u32 s18, s18, 1
	global_load_ubyte v6, v7, s[26:27]
	s_addc_u32 s19, s19, 0
	s_waitcnt vmcnt(0)
	v_and_b32_e32 v6, 0xffff, v6
	v_lshlrev_b64 v[14:15], s14, v[6:7]
	s_add_u32 s14, s14, 8
	s_addc_u32 s15, s15, 0
	s_cmp_lg_u32 s24, s18
	v_or_b32_e32 v12, v14, v12
	v_or_b32_e32 v13, v15, v13
	s_cbranch_scc1 .LBB3_52
.LBB3_53:                               ;   in Loop: Header=BB3_35 Depth=1
	s_mov_b64 s[14:15], s[16:17]
	s_mov_b32 s1, 0
	s_cbranch_execz .LBB3_55
	s_branch .LBB3_56
.LBB3_54:                               ;   in Loop: Header=BB3_35 Depth=1
	s_mov_b32 s1, 0
.LBB3_55:                               ;   in Loop: Header=BB3_35 Depth=1
	global_load_dwordx2 v[12:13], v7, s[16:17]
	s_add_i32 s1, s24, -8
.LBB3_56:                               ;   in Loop: Header=BB3_35 Depth=1
	s_add_u32 s16, s14, 8
	s_addc_u32 s17, s15, 0
	s_cmp_gt_u32 s1, 7
	s_cbranch_scc1 .LBB3_61
; %bb.57:                               ;   in Loop: Header=BB3_35 Depth=1
	v_mov_b32_e32 v14, 0
	v_mov_b32_e32 v15, 0
	s_cmp_eq_u32 s1, 0
	s_cbranch_scc1 .LBB3_60
; %bb.58:                               ;   in Loop: Header=BB3_35 Depth=1
	s_mov_b64 s[16:17], 0
	s_mov_b64 s[18:19], 0
.LBB3_59:                               ;   Parent Loop BB3_35 Depth=1
                                        ; =>  This Inner Loop Header: Depth=2
	s_add_u32 s24, s14, s18
	s_addc_u32 s25, s15, s19
	s_add_u32 s18, s18, 1
	global_load_ubyte v6, v7, s[24:25]
	s_addc_u32 s19, s19, 0
	s_waitcnt vmcnt(0)
	v_and_b32_e32 v6, 0xffff, v6
	v_lshlrev_b64 v[16:17], s16, v[6:7]
	s_add_u32 s16, s16, 8
	s_addc_u32 s17, s17, 0
	s_cmp_lg_u32 s1, s18
	v_or_b32_e32 v14, v16, v14
	v_or_b32_e32 v15, v17, v15
	s_cbranch_scc1 .LBB3_59
.LBB3_60:                               ;   in Loop: Header=BB3_35 Depth=1
	s_mov_b64 s[16:17], s[14:15]
	s_mov_b32 s24, 0
	s_cbranch_execz .LBB3_62
	s_branch .LBB3_63
.LBB3_61:                               ;   in Loop: Header=BB3_35 Depth=1
                                        ; implicit-def: $vgpr14_vgpr15
	s_mov_b32 s24, 0
.LBB3_62:                               ;   in Loop: Header=BB3_35 Depth=1
	global_load_dwordx2 v[14:15], v7, s[14:15]
	s_add_i32 s24, s1, -8
.LBB3_63:                               ;   in Loop: Header=BB3_35 Depth=1
	s_add_u32 s14, s16, 8
	s_addc_u32 s15, s17, 0
	s_cmp_gt_u32 s24, 7
	s_cbranch_scc1 .LBB3_68
; %bb.64:                               ;   in Loop: Header=BB3_35 Depth=1
	v_mov_b32_e32 v16, 0
	v_mov_b32_e32 v17, 0
	s_cmp_eq_u32 s24, 0
	s_cbranch_scc1 .LBB3_67
; %bb.65:                               ;   in Loop: Header=BB3_35 Depth=1
	s_mov_b64 s[14:15], 0
	s_mov_b64 s[18:19], 0
.LBB3_66:                               ;   Parent Loop BB3_35 Depth=1
                                        ; =>  This Inner Loop Header: Depth=2
	s_add_u32 s26, s16, s18
	s_addc_u32 s27, s17, s19
	s_add_u32 s18, s18, 1
	global_load_ubyte v6, v7, s[26:27]
	s_addc_u32 s19, s19, 0
	s_waitcnt vmcnt(0)
	v_and_b32_e32 v6, 0xffff, v6
	v_lshlrev_b64 v[18:19], s14, v[6:7]
	s_add_u32 s14, s14, 8
	s_addc_u32 s15, s15, 0
	s_cmp_lg_u32 s24, s18
	v_or_b32_e32 v16, v18, v16
	v_or_b32_e32 v17, v19, v17
	s_cbranch_scc1 .LBB3_66
.LBB3_67:                               ;   in Loop: Header=BB3_35 Depth=1
	s_mov_b64 s[14:15], s[16:17]
	s_mov_b32 s1, 0
	s_cbranch_execz .LBB3_69
	s_branch .LBB3_70
.LBB3_68:                               ;   in Loop: Header=BB3_35 Depth=1
	s_mov_b32 s1, 0
.LBB3_69:                               ;   in Loop: Header=BB3_35 Depth=1
	global_load_dwordx2 v[16:17], v7, s[16:17]
	s_add_i32 s1, s24, -8
.LBB3_70:                               ;   in Loop: Header=BB3_35 Depth=1
	s_add_u32 s16, s14, 8
	s_addc_u32 s17, s15, 0
	s_cmp_gt_u32 s1, 7
	s_cbranch_scc1 .LBB3_75
; %bb.71:                               ;   in Loop: Header=BB3_35 Depth=1
	v_mov_b32_e32 v18, 0
	v_mov_b32_e32 v19, 0
	s_cmp_eq_u32 s1, 0
	s_cbranch_scc1 .LBB3_74
; %bb.72:                               ;   in Loop: Header=BB3_35 Depth=1
	s_mov_b64 s[16:17], 0
	s_mov_b64 s[18:19], 0
.LBB3_73:                               ;   Parent Loop BB3_35 Depth=1
                                        ; =>  This Inner Loop Header: Depth=2
	s_add_u32 s24, s14, s18
	s_addc_u32 s25, s15, s19
	s_add_u32 s18, s18, 1
	global_load_ubyte v6, v7, s[24:25]
	s_addc_u32 s19, s19, 0
	s_waitcnt vmcnt(0)
	v_and_b32_e32 v6, 0xffff, v6
	v_lshlrev_b64 v[20:21], s16, v[6:7]
	s_add_u32 s16, s16, 8
	s_addc_u32 s17, s17, 0
	s_cmp_lg_u32 s1, s18
	v_or_b32_e32 v18, v20, v18
	v_or_b32_e32 v19, v21, v19
	s_cbranch_scc1 .LBB3_73
.LBB3_74:                               ;   in Loop: Header=BB3_35 Depth=1
	s_mov_b64 s[16:17], s[14:15]
	s_mov_b32 s24, 0
	s_cbranch_execz .LBB3_76
	s_branch .LBB3_77
.LBB3_75:                               ;   in Loop: Header=BB3_35 Depth=1
                                        ; implicit-def: $vgpr18_vgpr19
	s_mov_b32 s24, 0
.LBB3_76:                               ;   in Loop: Header=BB3_35 Depth=1
	global_load_dwordx2 v[18:19], v7, s[14:15]
	s_add_i32 s24, s1, -8
.LBB3_77:                               ;   in Loop: Header=BB3_35 Depth=1
	s_cmp_gt_u32 s24, 7
	s_cbranch_scc1 .LBB3_82
; %bb.78:                               ;   in Loop: Header=BB3_35 Depth=1
	v_mov_b32_e32 v20, 0
	v_mov_b32_e32 v21, 0
	s_cmp_eq_u32 s24, 0
	s_cbranch_scc1 .LBB3_81
; %bb.79:                               ;   in Loop: Header=BB3_35 Depth=1
	s_mov_b64 s[14:15], 0
	s_mov_b64 s[18:19], s[16:17]
.LBB3_80:                               ;   Parent Loop BB3_35 Depth=1
                                        ; =>  This Inner Loop Header: Depth=2
	global_load_ubyte v6, v7, s[18:19]
	s_add_i32 s24, s24, -1
	s_waitcnt vmcnt(0)
	v_and_b32_e32 v6, 0xffff, v6
	v_lshlrev_b64 v[22:23], s14, v[6:7]
	s_add_u32 s14, s14, 8
	s_addc_u32 s15, s15, 0
	s_add_u32 s18, s18, 1
	s_addc_u32 s19, s19, 0
	s_cmp_lg_u32 s24, 0
	v_or_b32_e32 v20, v22, v20
	v_or_b32_e32 v21, v23, v21
	s_cbranch_scc1 .LBB3_80
.LBB3_81:                               ;   in Loop: Header=BB3_35 Depth=1
	s_cbranch_execz .LBB3_83
	s_branch .LBB3_84
.LBB3_82:                               ;   in Loop: Header=BB3_35 Depth=1
.LBB3_83:                               ;   in Loop: Header=BB3_35 Depth=1
	global_load_dwordx2 v[20:21], v7, s[16:17]
.LBB3_84:                               ;   in Loop: Header=BB3_35 Depth=1
	v_readfirstlane_b32 s1, v31
	v_mov_b32_e32 v27, 0
	v_mov_b32_e32 v28, 0
	v_cmp_eq_u32_e64 s1, s1, v31
	s_and_saveexec_b32 s14, s1
	s_cbranch_execz .LBB3_90
; %bb.85:                               ;   in Loop: Header=BB3_35 Depth=1
	global_load_dwordx2 v[24:25], v7, s[6:7] offset:24 glc dlc
	s_waitcnt vmcnt(0)
	buffer_gl1_inv
	buffer_gl0_inv
	s_clause 0x1
	global_load_dwordx2 v[22:23], v7, s[6:7] offset:40
	global_load_dwordx2 v[27:28], v7, s[6:7]
	s_mov_b32 s15, exec_lo
	s_waitcnt vmcnt(1)
	v_and_b32_e32 v6, v23, v25
	v_and_b32_e32 v22, v22, v24
	v_mul_lo_u32 v6, v6, 24
	v_mul_hi_u32 v23, v22, 24
	v_mul_lo_u32 v22, v22, 24
	v_add_nc_u32_e32 v6, v23, v6
	s_waitcnt vmcnt(0)
	v_add_co_u32 v22, vcc_lo, v27, v22
	v_add_co_ci_u32_e64 v23, null, v28, v6, vcc_lo
	global_load_dwordx2 v[22:23], v[22:23], off glc dlc
	s_waitcnt vmcnt(0)
	global_atomic_cmpswap_x2 v[27:28], v7, v[22:25], s[6:7] offset:24 glc
	s_waitcnt vmcnt(0)
	buffer_gl1_inv
	buffer_gl0_inv
	v_cmpx_ne_u64_e64 v[27:28], v[24:25]
	s_cbranch_execz .LBB3_89
; %bb.86:                               ;   in Loop: Header=BB3_35 Depth=1
	s_mov_b32 s16, 0
	.p2align	6
.LBB3_87:                               ;   Parent Loop BB3_35 Depth=1
                                        ; =>  This Inner Loop Header: Depth=2
	s_sleep 1
	s_clause 0x1
	global_load_dwordx2 v[22:23], v7, s[6:7] offset:40
	global_load_dwordx2 v[34:35], v7, s[6:7]
	v_mov_b32_e32 v24, v27
	v_mov_b32_e32 v25, v28
	s_waitcnt vmcnt(1)
	v_and_b32_e32 v6, v22, v24
	v_and_b32_e32 v22, v23, v25
	s_waitcnt vmcnt(0)
	v_mad_u64_u32 v[27:28], null, v6, 24, v[34:35]
	v_mov_b32_e32 v6, v28
	v_mad_u64_u32 v[22:23], null, v22, 24, v[6:7]
	v_mov_b32_e32 v28, v22
	global_load_dwordx2 v[22:23], v[27:28], off glc dlc
	s_waitcnt vmcnt(0)
	global_atomic_cmpswap_x2 v[27:28], v7, v[22:25], s[6:7] offset:24 glc
	s_waitcnt vmcnt(0)
	buffer_gl1_inv
	buffer_gl0_inv
	v_cmp_eq_u64_e32 vcc_lo, v[27:28], v[24:25]
	s_or_b32 s16, vcc_lo, s16
	s_andn2_b32 exec_lo, exec_lo, s16
	s_cbranch_execnz .LBB3_87
; %bb.88:                               ;   in Loop: Header=BB3_35 Depth=1
	s_or_b32 exec_lo, exec_lo, s16
.LBB3_89:                               ;   in Loop: Header=BB3_35 Depth=1
	s_or_b32 exec_lo, exec_lo, s15
.LBB3_90:                               ;   in Loop: Header=BB3_35 Depth=1
	s_or_b32 exec_lo, exec_lo, s14
	s_clause 0x1
	global_load_dwordx2 v[34:35], v7, s[6:7] offset:40
	global_load_dwordx4 v[22:25], v7, s[6:7]
	v_readfirstlane_b32 s15, v28
	v_readfirstlane_b32 s14, v27
	s_mov_b32 s18, exec_lo
	s_waitcnt vmcnt(1)
	v_readfirstlane_b32 s16, v34
	v_readfirstlane_b32 s17, v35
	s_and_b64 s[16:17], s[16:17], s[14:15]
	s_mul_i32 s19, s17, 24
	s_mul_hi_u32 s24, s16, 24
	s_mul_i32 s25, s16, 24
	s_add_i32 s24, s24, s19
	s_waitcnt vmcnt(0)
	v_add_co_u32 v27, vcc_lo, v22, s25
	v_add_co_ci_u32_e64 v28, null, s24, v23, vcc_lo
	s_and_saveexec_b32 s19, s1
	s_cbranch_execz .LBB3_92
; %bb.91:                               ;   in Loop: Header=BB3_35 Depth=1
	v_mov_b32_e32 v6, s18
	global_store_dwordx4 v[27:28], v[6:9], off offset:8
.LBB3_92:                               ;   in Loop: Header=BB3_35 Depth=1
	s_or_b32 exec_lo, exec_lo, s19
	v_cmp_lt_u64_e64 vcc_lo, s[10:11], 57
	s_lshl_b64 s[16:17], s[16:17], 12
	v_and_b32_e32 v2, 0xffffff1f, v2
	v_cndmask_b32_e32 v6, 0, v33, vcc_lo
	v_add_co_u32 v24, vcc_lo, v24, s16
	v_add_co_ci_u32_e64 v25, null, s17, v25, vcc_lo
	v_or_b32_e32 v2, v2, v6
	s_lshl_b32 s16, s12, 2
	s_add_i32 s18, s16, 28
	v_readfirstlane_b32 s16, v24
	v_readfirstlane_b32 s17, v25
	v_and_or_b32 v2, 0x1e0, s18, v2
	global_store_dwordx4 v30, v[10:13], s[16:17] offset:16
	global_store_dwordx4 v30, v[2:5], s[16:17]
	global_store_dwordx4 v30, v[14:17], s[16:17] offset:32
	global_store_dwordx4 v30, v[18:21], s[16:17] offset:48
	s_and_saveexec_b32 s16, s1
	s_cbranch_execz .LBB3_100
; %bb.93:                               ;   in Loop: Header=BB3_35 Depth=1
	s_clause 0x1
	global_load_dwordx2 v[14:15], v7, s[6:7] offset:32 glc dlc
	global_load_dwordx2 v[2:3], v7, s[6:7] offset:40
	v_mov_b32_e32 v12, s14
	v_mov_b32_e32 v13, s15
	s_waitcnt vmcnt(0)
	v_readfirstlane_b32 s18, v2
	v_readfirstlane_b32 s19, v3
	s_and_b64 s[18:19], s[18:19], s[14:15]
	s_mul_i32 s17, s19, 24
	s_mul_hi_u32 s19, s18, 24
	s_mul_i32 s18, s18, 24
	s_add_i32 s19, s19, s17
	v_add_co_u32 v10, vcc_lo, v22, s18
	v_add_co_ci_u32_e64 v11, null, s19, v23, vcc_lo
	s_mov_b32 s17, exec_lo
	global_store_dwordx2 v[10:11], v[14:15], off
	s_waitcnt_vscnt null, 0x0
	global_atomic_cmpswap_x2 v[4:5], v7, v[12:15], s[6:7] offset:32 glc
	s_waitcnt vmcnt(0)
	v_cmpx_ne_u64_e64 v[4:5], v[14:15]
	s_cbranch_execz .LBB3_96
; %bb.94:                               ;   in Loop: Header=BB3_35 Depth=1
	s_mov_b32 s18, 0
.LBB3_95:                               ;   Parent Loop BB3_35 Depth=1
                                        ; =>  This Inner Loop Header: Depth=2
	v_mov_b32_e32 v2, s14
	v_mov_b32_e32 v3, s15
	s_sleep 1
	global_store_dwordx2 v[10:11], v[4:5], off
	s_waitcnt_vscnt null, 0x0
	global_atomic_cmpswap_x2 v[2:3], v7, v[2:5], s[6:7] offset:32 glc
	s_waitcnt vmcnt(0)
	v_cmp_eq_u64_e32 vcc_lo, v[2:3], v[4:5]
	v_mov_b32_e32 v5, v3
	v_mov_b32_e32 v4, v2
	s_or_b32 s18, vcc_lo, s18
	s_andn2_b32 exec_lo, exec_lo, s18
	s_cbranch_execnz .LBB3_95
.LBB3_96:                               ;   in Loop: Header=BB3_35 Depth=1
	s_or_b32 exec_lo, exec_lo, s17
	global_load_dwordx2 v[2:3], v7, s[6:7] offset:16
	s_mov_b32 s18, exec_lo
	s_mov_b32 s17, exec_lo
	v_mbcnt_lo_u32_b32 v4, s18, 0
	v_cmpx_eq_u32_e32 0, v4
	s_cbranch_execz .LBB3_98
; %bb.97:                               ;   in Loop: Header=BB3_35 Depth=1
	s_bcnt1_i32_b32 s18, s18
	v_mov_b32_e32 v6, s18
	s_waitcnt vmcnt(0)
	global_atomic_add_x2 v[2:3], v[6:7], off offset:8
.LBB3_98:                               ;   in Loop: Header=BB3_35 Depth=1
	s_or_b32 exec_lo, exec_lo, s17
	s_waitcnt vmcnt(0)
	global_load_dwordx2 v[4:5], v[2:3], off offset:16
	s_waitcnt vmcnt(0)
	v_cmp_eq_u64_e32 vcc_lo, 0, v[4:5]
	s_cbranch_vccnz .LBB3_100
; %bb.99:                               ;   in Loop: Header=BB3_35 Depth=1
	global_load_dword v6, v[2:3], off offset:24
	s_waitcnt vmcnt(0)
	v_readfirstlane_b32 s17, v6
	s_waitcnt_vscnt null, 0x0
	global_store_dwordx2 v[4:5], v[6:7], off
	s_and_b32 m0, s17, 0x7fffff
	s_sendmsg sendmsg(MSG_INTERRUPT)
.LBB3_100:                              ;   in Loop: Header=BB3_35 Depth=1
	s_or_b32 exec_lo, exec_lo, s16
	v_add_co_u32 v2, vcc_lo, v24, v30
	v_add_co_ci_u32_e64 v3, null, 0, v25, vcc_lo
	s_branch .LBB3_104
	.p2align	6
.LBB3_101:                              ;   in Loop: Header=BB3_104 Depth=2
	s_or_b32 exec_lo, exec_lo, s16
	v_readfirstlane_b32 s16, v4
	s_cmp_eq_u32 s16, 0
	s_cbranch_scc1 .LBB3_103
; %bb.102:                              ;   in Loop: Header=BB3_104 Depth=2
	s_sleep 1
	s_cbranch_execnz .LBB3_104
	s_branch .LBB3_106
	.p2align	6
.LBB3_103:                              ;   in Loop: Header=BB3_35 Depth=1
	s_branch .LBB3_106
.LBB3_104:                              ;   Parent Loop BB3_35 Depth=1
                                        ; =>  This Inner Loop Header: Depth=2
	v_mov_b32_e32 v4, 1
	s_and_saveexec_b32 s16, s1
	s_cbranch_execz .LBB3_101
; %bb.105:                              ;   in Loop: Header=BB3_104 Depth=2
	global_load_dword v4, v[27:28], off offset:20 glc dlc
	s_waitcnt vmcnt(0)
	buffer_gl1_inv
	buffer_gl0_inv
	v_and_b32_e32 v4, 1, v4
	s_branch .LBB3_101
.LBB3_106:                              ;   in Loop: Header=BB3_35 Depth=1
	global_load_dwordx2 v[2:3], v[2:3], off
	s_and_saveexec_b32 s16, s1
	s_cbranch_execz .LBB3_34
; %bb.107:                              ;   in Loop: Header=BB3_35 Depth=1
	s_clause 0x2
	global_load_dwordx2 v[4:5], v7, s[6:7] offset:40
	global_load_dwordx2 v[14:15], v7, s[6:7] offset:24 glc dlc
	global_load_dwordx2 v[10:11], v7, s[6:7]
	s_waitcnt vmcnt(2)
	v_readfirstlane_b32 s18, v4
	v_readfirstlane_b32 s19, v5
	s_add_u32 s1, s18, 1
	s_addc_u32 s17, s19, 0
	s_add_u32 s14, s1, s14
	s_addc_u32 s15, s17, s15
	s_cmp_eq_u64 s[14:15], 0
	s_cselect_b32 s15, s17, s15
	s_cselect_b32 s14, s1, s14
	v_mov_b32_e32 v13, s15
	s_and_b64 s[18:19], s[14:15], s[18:19]
	v_mov_b32_e32 v12, s14
	s_mul_i32 s1, s19, 24
	s_mul_hi_u32 s17, s18, 24
	s_mul_i32 s18, s18, 24
	s_add_i32 s17, s17, s1
	s_waitcnt vmcnt(0)
	v_add_co_u32 v4, vcc_lo, v10, s18
	v_add_co_ci_u32_e64 v5, null, s17, v11, vcc_lo
	global_store_dwordx2 v[4:5], v[14:15], off
	s_waitcnt_vscnt null, 0x0
	global_atomic_cmpswap_x2 v[12:13], v7, v[12:15], s[6:7] offset:24 glc
	s_waitcnt vmcnt(0)
	v_cmp_ne_u64_e32 vcc_lo, v[12:13], v[14:15]
	s_and_b32 exec_lo, exec_lo, vcc_lo
	s_cbranch_execz .LBB3_34
; %bb.108:                              ;   in Loop: Header=BB3_35 Depth=1
	s_mov_b32 s1, 0
.LBB3_109:                              ;   Parent Loop BB3_35 Depth=1
                                        ; =>  This Inner Loop Header: Depth=2
	v_mov_b32_e32 v10, s14
	v_mov_b32_e32 v11, s15
	s_sleep 1
	global_store_dwordx2 v[4:5], v[12:13], off
	s_waitcnt_vscnt null, 0x0
	global_atomic_cmpswap_x2 v[10:11], v7, v[10:13], s[6:7] offset:24 glc
	s_waitcnt vmcnt(0)
	v_cmp_eq_u64_e32 vcc_lo, v[10:11], v[12:13]
	v_mov_b32_e32 v13, v11
	v_mov_b32_e32 v12, v10
	s_or_b32 s1, vcc_lo, s1
	s_andn2_b32 exec_lo, exec_lo, s1
	s_cbranch_execnz .LBB3_109
	s_branch .LBB3_34
.LBB3_110:
	s_branch .LBB3_139
.LBB3_111:
                                        ; implicit-def: $vgpr2_vgpr3
	s_cbranch_execz .LBB3_139
; %bb.112:
	v_readfirstlane_b32 s1, v31
	v_mov_b32_e32 v8, 0
	v_mov_b32_e32 v9, 0
	v_cmp_eq_u32_e64 s1, s1, v31
	s_and_saveexec_b32 s8, s1
	s_cbranch_execz .LBB3_118
; %bb.113:
	s_waitcnt vmcnt(0)
	v_mov_b32_e32 v2, 0
	s_mov_b32 s9, exec_lo
	global_load_dwordx2 v[5:6], v2, s[6:7] offset:24 glc dlc
	s_waitcnt vmcnt(0)
	buffer_gl1_inv
	buffer_gl0_inv
	s_clause 0x1
	global_load_dwordx2 v[3:4], v2, s[6:7] offset:40
	global_load_dwordx2 v[7:8], v2, s[6:7]
	s_waitcnt vmcnt(1)
	v_and_b32_e32 v4, v4, v6
	v_and_b32_e32 v3, v3, v5
	v_mul_lo_u32 v4, v4, 24
	v_mul_hi_u32 v9, v3, 24
	v_mul_lo_u32 v3, v3, 24
	v_add_nc_u32_e32 v4, v9, v4
	s_waitcnt vmcnt(0)
	v_add_co_u32 v3, vcc_lo, v7, v3
	v_add_co_ci_u32_e64 v4, null, v8, v4, vcc_lo
	global_load_dwordx2 v[3:4], v[3:4], off glc dlc
	s_waitcnt vmcnt(0)
	global_atomic_cmpswap_x2 v[8:9], v2, v[3:6], s[6:7] offset:24 glc
	s_waitcnt vmcnt(0)
	buffer_gl1_inv
	buffer_gl0_inv
	v_cmpx_ne_u64_e64 v[8:9], v[5:6]
	s_cbranch_execz .LBB3_117
; %bb.114:
	s_mov_b32 s10, 0
	.p2align	6
.LBB3_115:                              ; =>This Inner Loop Header: Depth=1
	s_sleep 1
	s_clause 0x1
	global_load_dwordx2 v[3:4], v2, s[6:7] offset:40
	global_load_dwordx2 v[10:11], v2, s[6:7]
	v_mov_b32_e32 v5, v8
	v_mov_b32_e32 v6, v9
	s_waitcnt vmcnt(1)
	v_and_b32_e32 v3, v3, v5
	v_and_b32_e32 v4, v4, v6
	s_waitcnt vmcnt(0)
	v_mad_u64_u32 v[7:8], null, v3, 24, v[10:11]
	v_mov_b32_e32 v3, v8
	v_mad_u64_u32 v[3:4], null, v4, 24, v[3:4]
	v_mov_b32_e32 v8, v3
	global_load_dwordx2 v[3:4], v[7:8], off glc dlc
	s_waitcnt vmcnt(0)
	global_atomic_cmpswap_x2 v[8:9], v2, v[3:6], s[6:7] offset:24 glc
	s_waitcnt vmcnt(0)
	buffer_gl1_inv
	buffer_gl0_inv
	v_cmp_eq_u64_e32 vcc_lo, v[8:9], v[5:6]
	s_or_b32 s10, vcc_lo, s10
	s_andn2_b32 exec_lo, exec_lo, s10
	s_cbranch_execnz .LBB3_115
; %bb.116:
	s_or_b32 exec_lo, exec_lo, s10
.LBB3_117:
	s_or_b32 exec_lo, exec_lo, s9
.LBB3_118:
	s_or_b32 exec_lo, exec_lo, s8
	s_waitcnt vmcnt(0)
	v_mov_b32_e32 v2, 0
	v_readfirstlane_b32 s9, v9
	v_readfirstlane_b32 s8, v8
	s_mov_b32 s12, exec_lo
	s_clause 0x1
	global_load_dwordx2 v[10:11], v2, s[6:7] offset:40
	global_load_dwordx4 v[4:7], v2, s[6:7]
	s_waitcnt vmcnt(1)
	v_readfirstlane_b32 s10, v10
	v_readfirstlane_b32 s11, v11
	s_and_b64 s[10:11], s[10:11], s[8:9]
	s_mul_i32 s13, s11, 24
	s_mul_hi_u32 s14, s10, 24
	s_mul_i32 s15, s10, 24
	s_add_i32 s14, s14, s13
	s_waitcnt vmcnt(0)
	v_add_co_u32 v8, vcc_lo, v4, s15
	v_add_co_ci_u32_e64 v9, null, s14, v5, vcc_lo
	s_and_saveexec_b32 s13, s1
	s_cbranch_execz .LBB3_120
; %bb.119:
	v_mov_b32_e32 v10, s12
	v_mov_b32_e32 v11, v2
	;; [unrolled: 1-line block ×4, first 2 shown]
	global_store_dwordx4 v[8:9], v[10:13], off offset:8
.LBB3_120:
	s_or_b32 exec_lo, exec_lo, s13
	s_lshl_b64 s[10:11], s[10:11], 12
	s_mov_b32 s12, 0
	v_add_co_u32 v6, vcc_lo, v6, s10
	v_add_co_ci_u32_e64 v7, null, s11, v7, vcc_lo
	s_mov_b32 s13, s12
	v_readfirstlane_b32 s10, v6
	v_add_co_u32 v6, vcc_lo, v6, v30
	s_mov_b32 s14, s12
	s_mov_b32 s15, s12
	v_and_or_b32 v0, 0xffffff1f, v0, 32
	v_mov_b32_e32 v3, v2
	v_readfirstlane_b32 s11, v7
	v_mov_b32_e32 v10, s12
	v_add_co_ci_u32_e64 v7, null, 0, v7, vcc_lo
	v_mov_b32_e32 v11, s13
	v_mov_b32_e32 v12, s14
	;; [unrolled: 1-line block ×3, first 2 shown]
	global_store_dwordx4 v30, v[0:3], s[10:11]
	global_store_dwordx4 v30, v[10:13], s[10:11] offset:16
	global_store_dwordx4 v30, v[10:13], s[10:11] offset:32
	;; [unrolled: 1-line block ×3, first 2 shown]
	s_and_saveexec_b32 s10, s1
	s_cbranch_execz .LBB3_128
; %bb.121:
	v_mov_b32_e32 v10, 0
	v_mov_b32_e32 v11, s8
	;; [unrolled: 1-line block ×3, first 2 shown]
	s_clause 0x1
	global_load_dwordx2 v[13:14], v10, s[6:7] offset:32 glc dlc
	global_load_dwordx2 v[0:1], v10, s[6:7] offset:40
	s_waitcnt vmcnt(0)
	v_readfirstlane_b32 s12, v0
	v_readfirstlane_b32 s13, v1
	s_and_b64 s[12:13], s[12:13], s[8:9]
	s_mul_i32 s11, s13, 24
	s_mul_hi_u32 s13, s12, 24
	s_mul_i32 s12, s12, 24
	s_add_i32 s13, s13, s11
	v_add_co_u32 v4, vcc_lo, v4, s12
	v_add_co_ci_u32_e64 v5, null, s13, v5, vcc_lo
	s_mov_b32 s11, exec_lo
	global_store_dwordx2 v[4:5], v[13:14], off
	s_waitcnt_vscnt null, 0x0
	global_atomic_cmpswap_x2 v[2:3], v10, v[11:14], s[6:7] offset:32 glc
	s_waitcnt vmcnt(0)
	v_cmpx_ne_u64_e64 v[2:3], v[13:14]
	s_cbranch_execz .LBB3_124
; %bb.122:
	s_mov_b32 s12, 0
.LBB3_123:                              ; =>This Inner Loop Header: Depth=1
	v_mov_b32_e32 v0, s8
	v_mov_b32_e32 v1, s9
	s_sleep 1
	global_store_dwordx2 v[4:5], v[2:3], off
	s_waitcnt_vscnt null, 0x0
	global_atomic_cmpswap_x2 v[0:1], v10, v[0:3], s[6:7] offset:32 glc
	s_waitcnt vmcnt(0)
	v_cmp_eq_u64_e32 vcc_lo, v[0:1], v[2:3]
	v_mov_b32_e32 v3, v1
	v_mov_b32_e32 v2, v0
	s_or_b32 s12, vcc_lo, s12
	s_andn2_b32 exec_lo, exec_lo, s12
	s_cbranch_execnz .LBB3_123
.LBB3_124:
	s_or_b32 exec_lo, exec_lo, s11
	v_mov_b32_e32 v3, 0
	s_mov_b32 s12, exec_lo
	s_mov_b32 s11, exec_lo
	v_mbcnt_lo_u32_b32 v2, s12, 0
	global_load_dwordx2 v[0:1], v3, s[6:7] offset:16
	v_cmpx_eq_u32_e32 0, v2
	s_cbranch_execz .LBB3_126
; %bb.125:
	s_bcnt1_i32_b32 s12, s12
	v_mov_b32_e32 v2, s12
	s_waitcnt vmcnt(0)
	global_atomic_add_x2 v[0:1], v[2:3], off offset:8
.LBB3_126:
	s_or_b32 exec_lo, exec_lo, s11
	s_waitcnt vmcnt(0)
	global_load_dwordx2 v[2:3], v[0:1], off offset:16
	s_waitcnt vmcnt(0)
	v_cmp_eq_u64_e32 vcc_lo, 0, v[2:3]
	s_cbranch_vccnz .LBB3_128
; %bb.127:
	global_load_dword v0, v[0:1], off offset:24
	v_mov_b32_e32 v1, 0
	s_waitcnt vmcnt(0)
	v_readfirstlane_b32 s11, v0
	s_waitcnt_vscnt null, 0x0
	global_store_dwordx2 v[2:3], v[0:1], off
	s_and_b32 m0, s11, 0x7fffff
	s_sendmsg sendmsg(MSG_INTERRUPT)
.LBB3_128:
	s_or_b32 exec_lo, exec_lo, s10
	s_branch .LBB3_132
	.p2align	6
.LBB3_129:                              ;   in Loop: Header=BB3_132 Depth=1
	s_or_b32 exec_lo, exec_lo, s10
	v_readfirstlane_b32 s10, v0
	s_cmp_eq_u32 s10, 0
	s_cbranch_scc1 .LBB3_131
; %bb.130:                              ;   in Loop: Header=BB3_132 Depth=1
	s_sleep 1
	s_cbranch_execnz .LBB3_132
	s_branch .LBB3_134
	.p2align	6
.LBB3_131:
	s_branch .LBB3_134
.LBB3_132:                              ; =>This Inner Loop Header: Depth=1
	v_mov_b32_e32 v0, 1
	s_and_saveexec_b32 s10, s1
	s_cbranch_execz .LBB3_129
; %bb.133:                              ;   in Loop: Header=BB3_132 Depth=1
	global_load_dword v0, v[8:9], off offset:20 glc dlc
	s_waitcnt vmcnt(0)
	buffer_gl1_inv
	buffer_gl0_inv
	v_and_b32_e32 v0, 1, v0
	s_branch .LBB3_129
.LBB3_134:
	global_load_dwordx2 v[2:3], v[6:7], off
	s_and_saveexec_b32 s10, s1
	s_cbranch_execz .LBB3_138
; %bb.135:
	v_mov_b32_e32 v8, 0
	s_clause 0x2
	global_load_dwordx2 v[0:1], v8, s[6:7] offset:40
	global_load_dwordx2 v[11:12], v8, s[6:7] offset:24 glc dlc
	global_load_dwordx2 v[4:5], v8, s[6:7]
	s_waitcnt vmcnt(2)
	v_readfirstlane_b32 s12, v0
	v_readfirstlane_b32 s13, v1
	s_add_u32 s1, s12, 1
	s_addc_u32 s11, s13, 0
	s_add_u32 s8, s1, s8
	s_addc_u32 s9, s11, s9
	s_cmp_eq_u64 s[8:9], 0
	s_cselect_b32 s9, s11, s9
	s_cselect_b32 s8, s1, s8
	v_mov_b32_e32 v10, s9
	s_and_b64 s[12:13], s[8:9], s[12:13]
	v_mov_b32_e32 v9, s8
	s_mul_i32 s1, s13, 24
	s_mul_hi_u32 s11, s12, 24
	s_mul_i32 s12, s12, 24
	s_add_i32 s11, s11, s1
	s_waitcnt vmcnt(0)
	v_add_co_u32 v0, vcc_lo, v4, s12
	v_add_co_ci_u32_e64 v1, null, s11, v5, vcc_lo
	global_store_dwordx2 v[0:1], v[11:12], off
	s_waitcnt_vscnt null, 0x0
	global_atomic_cmpswap_x2 v[6:7], v8, v[9:12], s[6:7] offset:24 glc
	s_waitcnt vmcnt(0)
	v_cmp_ne_u64_e32 vcc_lo, v[6:7], v[11:12]
	s_and_b32 exec_lo, exec_lo, vcc_lo
	s_cbranch_execz .LBB3_138
; %bb.136:
	s_mov_b32 s1, 0
.LBB3_137:                              ; =>This Inner Loop Header: Depth=1
	v_mov_b32_e32 v4, s8
	v_mov_b32_e32 v5, s9
	s_sleep 1
	global_store_dwordx2 v[0:1], v[6:7], off
	s_waitcnt_vscnt null, 0x0
	global_atomic_cmpswap_x2 v[4:5], v8, v[4:7], s[6:7] offset:24 glc
	s_waitcnt vmcnt(0)
	v_cmp_eq_u64_e32 vcc_lo, v[4:5], v[6:7]
	v_mov_b32_e32 v7, v5
	v_mov_b32_e32 v6, v4
	s_or_b32 s1, vcc_lo, s1
	s_andn2_b32 exec_lo, exec_lo, s1
	s_cbranch_execnz .LBB3_137
.LBB3_138:
	s_or_b32 exec_lo, exec_lo, s10
.LBB3_139:
	v_readfirstlane_b32 s1, v31
	s_waitcnt vmcnt(0)
	v_mov_b32_e32 v0, 0
	v_mov_b32_e32 v1, 0
	v_cmp_eq_u32_e64 s1, s1, v31
	s_and_saveexec_b32 s8, s1
	s_cbranch_execz .LBB3_145
; %bb.140:
	v_mov_b32_e32 v4, 0
	s_mov_b32 s9, exec_lo
	global_load_dwordx2 v[7:8], v4, s[6:7] offset:24 glc dlc
	s_waitcnt vmcnt(0)
	buffer_gl1_inv
	buffer_gl0_inv
	s_clause 0x1
	global_load_dwordx2 v[0:1], v4, s[6:7] offset:40
	global_load_dwordx2 v[5:6], v4, s[6:7]
	s_waitcnt vmcnt(1)
	v_and_b32_e32 v1, v1, v8
	v_and_b32_e32 v0, v0, v7
	v_mul_lo_u32 v1, v1, 24
	v_mul_hi_u32 v9, v0, 24
	v_mul_lo_u32 v0, v0, 24
	v_add_nc_u32_e32 v1, v9, v1
	s_waitcnt vmcnt(0)
	v_add_co_u32 v0, vcc_lo, v5, v0
	v_add_co_ci_u32_e64 v1, null, v6, v1, vcc_lo
	global_load_dwordx2 v[5:6], v[0:1], off glc dlc
	s_waitcnt vmcnt(0)
	global_atomic_cmpswap_x2 v[0:1], v4, v[5:8], s[6:7] offset:24 glc
	s_waitcnt vmcnt(0)
	buffer_gl1_inv
	buffer_gl0_inv
	v_cmpx_ne_u64_e64 v[0:1], v[7:8]
	s_cbranch_execz .LBB3_144
; %bb.141:
	s_mov_b32 s10, 0
	.p2align	6
.LBB3_142:                              ; =>This Inner Loop Header: Depth=1
	s_sleep 1
	s_clause 0x1
	global_load_dwordx2 v[5:6], v4, s[6:7] offset:40
	global_load_dwordx2 v[9:10], v4, s[6:7]
	v_mov_b32_e32 v8, v1
	v_mov_b32_e32 v7, v0
	s_waitcnt vmcnt(1)
	v_and_b32_e32 v0, v5, v7
	v_and_b32_e32 v5, v6, v8
	s_waitcnt vmcnt(0)
	v_mad_u64_u32 v[0:1], null, v0, 24, v[9:10]
	v_mad_u64_u32 v[5:6], null, v5, 24, v[1:2]
	v_mov_b32_e32 v1, v5
	global_load_dwordx2 v[5:6], v[0:1], off glc dlc
	s_waitcnt vmcnt(0)
	global_atomic_cmpswap_x2 v[0:1], v4, v[5:8], s[6:7] offset:24 glc
	s_waitcnt vmcnt(0)
	buffer_gl1_inv
	buffer_gl0_inv
	v_cmp_eq_u64_e32 vcc_lo, v[0:1], v[7:8]
	s_or_b32 s10, vcc_lo, s10
	s_andn2_b32 exec_lo, exec_lo, s10
	s_cbranch_execnz .LBB3_142
; %bb.143:
	s_or_b32 exec_lo, exec_lo, s10
.LBB3_144:
	s_or_b32 exec_lo, exec_lo, s9
.LBB3_145:
	s_or_b32 exec_lo, exec_lo, s8
	v_mov_b32_e32 v5, 0
	v_readfirstlane_b32 s9, v1
	v_readfirstlane_b32 s8, v0
	s_mov_b32 s12, exec_lo
	s_clause 0x1
	global_load_dwordx2 v[10:11], v5, s[6:7] offset:40
	global_load_dwordx4 v[6:9], v5, s[6:7]
	s_waitcnt vmcnt(1)
	v_readfirstlane_b32 s10, v10
	v_readfirstlane_b32 s11, v11
	s_and_b64 s[10:11], s[10:11], s[8:9]
	s_mul_i32 s13, s11, 24
	s_mul_hi_u32 s14, s10, 24
	s_mul_i32 s15, s10, 24
	s_add_i32 s14, s14, s13
	s_waitcnt vmcnt(0)
	v_add_co_u32 v10, vcc_lo, v6, s15
	v_add_co_ci_u32_e64 v11, null, s14, v7, vcc_lo
	s_and_saveexec_b32 s13, s1
	s_cbranch_execz .LBB3_147
; %bb.146:
	v_mov_b32_e32 v4, s12
	v_mov_b32_e32 v13, v5
	;; [unrolled: 1-line block ×5, first 2 shown]
	global_store_dwordx4 v[10:11], v[12:15], off offset:8
.LBB3_147:
	s_or_b32 exec_lo, exec_lo, s13
	s_lshl_b64 s[10:11], s[10:11], 12
	s_mov_b32 s16, 0
	v_add_co_u32 v0, vcc_lo, v8, s10
	v_add_co_ci_u32_e64 v1, null, s11, v9, vcc_lo
	s_add_i32 s12, s20, -1
	v_add_co_u32 v8, vcc_lo, v0, v30
	s_mov_b32 s17, s16
	s_mov_b32 s18, s16
	;; [unrolled: 1-line block ×3, first 2 shown]
	v_and_or_b32 v2, 0xffffff1f, v2, 32
	v_mov_b32_e32 v4, s12
	v_readfirstlane_b32 s10, v0
	v_readfirstlane_b32 s11, v1
	v_mov_b32_e32 v12, s16
	v_add_co_ci_u32_e64 v9, null, 0, v1, vcc_lo
	v_mov_b32_e32 v13, s17
	v_mov_b32_e32 v14, s18
	;; [unrolled: 1-line block ×3, first 2 shown]
	global_store_dwordx4 v30, v[2:5], s[10:11]
	global_store_dwordx4 v30, v[12:15], s[10:11] offset:16
	global_store_dwordx4 v30, v[12:15], s[10:11] offset:32
	global_store_dwordx4 v30, v[12:15], s[10:11] offset:48
	s_and_saveexec_b32 s10, s1
	s_cbranch_execz .LBB3_155
; %bb.148:
	v_mov_b32_e32 v12, 0
	v_mov_b32_e32 v13, s8
	;; [unrolled: 1-line block ×3, first 2 shown]
	s_clause 0x1
	global_load_dwordx2 v[15:16], v12, s[6:7] offset:32 glc dlc
	global_load_dwordx2 v[0:1], v12, s[6:7] offset:40
	s_waitcnt vmcnt(0)
	v_readfirstlane_b32 s14, v0
	v_readfirstlane_b32 s15, v1
	s_and_b64 s[14:15], s[14:15], s[8:9]
	s_mul_i32 s11, s15, 24
	s_mul_hi_u32 s13, s14, 24
	s_mul_i32 s14, s14, 24
	s_add_i32 s13, s13, s11
	v_add_co_u32 v4, vcc_lo, v6, s14
	v_add_co_ci_u32_e64 v5, null, s13, v7, vcc_lo
	s_mov_b32 s11, exec_lo
	global_store_dwordx2 v[4:5], v[15:16], off
	s_waitcnt_vscnt null, 0x0
	global_atomic_cmpswap_x2 v[2:3], v12, v[13:16], s[6:7] offset:32 glc
	s_waitcnt vmcnt(0)
	v_cmpx_ne_u64_e64 v[2:3], v[15:16]
	s_cbranch_execz .LBB3_151
; %bb.149:
	s_mov_b32 s13, 0
.LBB3_150:                              ; =>This Inner Loop Header: Depth=1
	v_mov_b32_e32 v0, s8
	v_mov_b32_e32 v1, s9
	s_sleep 1
	global_store_dwordx2 v[4:5], v[2:3], off
	s_waitcnt_vscnt null, 0x0
	global_atomic_cmpswap_x2 v[0:1], v12, v[0:3], s[6:7] offset:32 glc
	s_waitcnt vmcnt(0)
	v_cmp_eq_u64_e32 vcc_lo, v[0:1], v[2:3]
	v_mov_b32_e32 v3, v1
	v_mov_b32_e32 v2, v0
	s_or_b32 s13, vcc_lo, s13
	s_andn2_b32 exec_lo, exec_lo, s13
	s_cbranch_execnz .LBB3_150
.LBB3_151:
	s_or_b32 exec_lo, exec_lo, s11
	v_mov_b32_e32 v3, 0
	s_mov_b32 s13, exec_lo
	s_mov_b32 s11, exec_lo
	v_mbcnt_lo_u32_b32 v2, s13, 0
	global_load_dwordx2 v[0:1], v3, s[6:7] offset:16
	v_cmpx_eq_u32_e32 0, v2
	s_cbranch_execz .LBB3_153
; %bb.152:
	s_bcnt1_i32_b32 s13, s13
	v_mov_b32_e32 v2, s13
	s_waitcnt vmcnt(0)
	global_atomic_add_x2 v[0:1], v[2:3], off offset:8
.LBB3_153:
	s_or_b32 exec_lo, exec_lo, s11
	s_waitcnt vmcnt(0)
	global_load_dwordx2 v[2:3], v[0:1], off offset:16
	s_waitcnt vmcnt(0)
	v_cmp_eq_u64_e32 vcc_lo, 0, v[2:3]
	s_cbranch_vccnz .LBB3_155
; %bb.154:
	global_load_dword v0, v[0:1], off offset:24
	v_mov_b32_e32 v1, 0
	s_waitcnt vmcnt(0)
	v_readfirstlane_b32 s11, v0
	s_waitcnt_vscnt null, 0x0
	global_store_dwordx2 v[2:3], v[0:1], off
	s_and_b32 m0, s11, 0x7fffff
	s_sendmsg sendmsg(MSG_INTERRUPT)
.LBB3_155:
	s_or_b32 exec_lo, exec_lo, s10
	s_branch .LBB3_159
	.p2align	6
.LBB3_156:                              ;   in Loop: Header=BB3_159 Depth=1
	s_or_b32 exec_lo, exec_lo, s10
	v_readfirstlane_b32 s10, v0
	s_cmp_eq_u32 s10, 0
	s_cbranch_scc1 .LBB3_158
; %bb.157:                              ;   in Loop: Header=BB3_159 Depth=1
	s_sleep 1
	s_cbranch_execnz .LBB3_159
	s_branch .LBB3_161
	.p2align	6
.LBB3_158:
	s_branch .LBB3_161
.LBB3_159:                              ; =>This Inner Loop Header: Depth=1
	v_mov_b32_e32 v0, 1
	s_and_saveexec_b32 s10, s1
	s_cbranch_execz .LBB3_156
; %bb.160:                              ;   in Loop: Header=BB3_159 Depth=1
	global_load_dword v0, v[10:11], off offset:20 glc dlc
	s_waitcnt vmcnt(0)
	buffer_gl1_inv
	buffer_gl0_inv
	v_and_b32_e32 v0, 1, v0
	s_branch .LBB3_156
.LBB3_161:
	global_load_dwordx2 v[0:1], v[8:9], off
	s_and_saveexec_b32 s10, s1
	s_cbranch_execz .LBB3_165
; %bb.162:
	v_mov_b32_e32 v8, 0
	s_clause 0x2
	global_load_dwordx2 v[2:3], v8, s[6:7] offset:40
	global_load_dwordx2 v[11:12], v8, s[6:7] offset:24 glc dlc
	global_load_dwordx2 v[4:5], v8, s[6:7]
	s_waitcnt vmcnt(2)
	v_readfirstlane_b32 s14, v2
	v_readfirstlane_b32 s15, v3
	s_add_u32 s1, s14, 1
	s_addc_u32 s11, s15, 0
	s_add_u32 s8, s1, s8
	s_addc_u32 s9, s11, s9
	s_cmp_eq_u64 s[8:9], 0
	s_cselect_b32 s9, s11, s9
	s_cselect_b32 s8, s1, s8
	v_mov_b32_e32 v10, s9
	s_and_b64 s[14:15], s[8:9], s[14:15]
	v_mov_b32_e32 v9, s8
	s_mul_i32 s1, s15, 24
	s_mul_hi_u32 s11, s14, 24
	s_mul_i32 s13, s14, 24
	s_add_i32 s11, s11, s1
	s_waitcnt vmcnt(0)
	v_add_co_u32 v6, vcc_lo, v4, s13
	v_add_co_ci_u32_e64 v7, null, s11, v5, vcc_lo
	global_store_dwordx2 v[6:7], v[11:12], off
	s_waitcnt_vscnt null, 0x0
	global_atomic_cmpswap_x2 v[4:5], v8, v[9:12], s[6:7] offset:24 glc
	s_waitcnt vmcnt(0)
	v_cmp_ne_u64_e32 vcc_lo, v[4:5], v[11:12]
	s_and_b32 exec_lo, exec_lo, vcc_lo
	s_cbranch_execz .LBB3_165
; %bb.163:
	s_mov_b32 s1, 0
.LBB3_164:                              ; =>This Inner Loop Header: Depth=1
	v_mov_b32_e32 v2, s8
	v_mov_b32_e32 v3, s9
	s_sleep 1
	global_store_dwordx2 v[6:7], v[4:5], off
	s_waitcnt_vscnt null, 0x0
	global_atomic_cmpswap_x2 v[2:3], v8, v[2:5], s[6:7] offset:24 glc
	s_waitcnt vmcnt(0)
	v_cmp_eq_u64_e32 vcc_lo, v[2:3], v[4:5]
	v_mov_b32_e32 v5, v3
	v_mov_b32_e32 v4, v2
	s_or_b32 s1, vcc_lo, s1
	s_andn2_b32 exec_lo, exec_lo, s1
	s_cbranch_execnz .LBB3_164
.LBB3_165:
	s_or_b32 exec_lo, exec_lo, s10
	v_readfirstlane_b32 s1, v31
	v_mov_b32_e32 v8, 0
	v_mov_b32_e32 v9, 0
	v_cmp_eq_u32_e64 s1, s1, v31
	s_and_saveexec_b32 s8, s1
	s_cbranch_execz .LBB3_171
; %bb.166:
	v_mov_b32_e32 v2, 0
	s_mov_b32 s9, exec_lo
	global_load_dwordx2 v[5:6], v2, s[6:7] offset:24 glc dlc
	s_waitcnt vmcnt(0)
	buffer_gl1_inv
	buffer_gl0_inv
	s_clause 0x1
	global_load_dwordx2 v[3:4], v2, s[6:7] offset:40
	global_load_dwordx2 v[7:8], v2, s[6:7]
	s_waitcnt vmcnt(1)
	v_and_b32_e32 v4, v4, v6
	v_and_b32_e32 v3, v3, v5
	v_mul_lo_u32 v4, v4, 24
	v_mul_hi_u32 v9, v3, 24
	v_mul_lo_u32 v3, v3, 24
	v_add_nc_u32_e32 v4, v9, v4
	s_waitcnt vmcnt(0)
	v_add_co_u32 v3, vcc_lo, v7, v3
	v_add_co_ci_u32_e64 v4, null, v8, v4, vcc_lo
	global_load_dwordx2 v[3:4], v[3:4], off glc dlc
	s_waitcnt vmcnt(0)
	global_atomic_cmpswap_x2 v[8:9], v2, v[3:6], s[6:7] offset:24 glc
	s_waitcnt vmcnt(0)
	buffer_gl1_inv
	buffer_gl0_inv
	v_cmpx_ne_u64_e64 v[8:9], v[5:6]
	s_cbranch_execz .LBB3_170
; %bb.167:
	s_mov_b32 s10, 0
	.p2align	6
.LBB3_168:                              ; =>This Inner Loop Header: Depth=1
	s_sleep 1
	s_clause 0x1
	global_load_dwordx2 v[3:4], v2, s[6:7] offset:40
	global_load_dwordx2 v[10:11], v2, s[6:7]
	v_mov_b32_e32 v5, v8
	v_mov_b32_e32 v6, v9
	s_waitcnt vmcnt(1)
	v_and_b32_e32 v3, v3, v5
	v_and_b32_e32 v4, v4, v6
	s_waitcnt vmcnt(0)
	v_mad_u64_u32 v[7:8], null, v3, 24, v[10:11]
	v_mov_b32_e32 v3, v8
	v_mad_u64_u32 v[3:4], null, v4, 24, v[3:4]
	v_mov_b32_e32 v8, v3
	global_load_dwordx2 v[3:4], v[7:8], off glc dlc
	s_waitcnt vmcnt(0)
	global_atomic_cmpswap_x2 v[8:9], v2, v[3:6], s[6:7] offset:24 glc
	s_waitcnt vmcnt(0)
	buffer_gl1_inv
	buffer_gl0_inv
	v_cmp_eq_u64_e32 vcc_lo, v[8:9], v[5:6]
	s_or_b32 s10, vcc_lo, s10
	s_andn2_b32 exec_lo, exec_lo, s10
	s_cbranch_execnz .LBB3_168
; %bb.169:
	s_or_b32 exec_lo, exec_lo, s10
.LBB3_170:
	s_or_b32 exec_lo, exec_lo, s9
.LBB3_171:
	s_or_b32 exec_lo, exec_lo, s8
	v_mov_b32_e32 v3, 0
	v_readfirstlane_b32 s9, v9
	v_readfirstlane_b32 s8, v8
	s_mov_b32 s13, exec_lo
	s_clause 0x1
	global_load_dwordx2 v[10:11], v3, s[6:7] offset:40
	global_load_dwordx4 v[4:7], v3, s[6:7]
	s_waitcnt vmcnt(1)
	v_readfirstlane_b32 s10, v10
	v_readfirstlane_b32 s11, v11
	s_and_b64 s[10:11], s[10:11], s[8:9]
	s_mul_i32 s14, s11, 24
	s_mul_hi_u32 s15, s10, 24
	s_mul_i32 s16, s10, 24
	s_add_i32 s15, s15, s14
	s_waitcnt vmcnt(0)
	v_add_co_u32 v8, vcc_lo, v4, s16
	v_add_co_ci_u32_e64 v9, null, s15, v5, vcc_lo
	s_and_saveexec_b32 s14, s1
	s_cbranch_execz .LBB3_173
; %bb.172:
	v_mov_b32_e32 v2, s13
	v_mov_b32_e32 v11, v3
	;; [unrolled: 1-line block ×5, first 2 shown]
	global_store_dwordx4 v[8:9], v[10:13], off offset:8
.LBB3_173:
	s_or_b32 exec_lo, exec_lo, s14
	s_lshl_b64 s[10:11], s[10:11], 12
	s_mov_b32 s16, 0
	v_add_co_u32 v6, vcc_lo, v6, s10
	v_add_co_ci_u32_e64 v7, null, s11, v7, vcc_lo
	s_mov_b32 s17, s16
	v_readfirstlane_b32 s10, v6
	v_add_co_u32 v6, vcc_lo, v6, v30
	s_mov_b32 s18, s16
	s_mov_b32 s19, s16
	v_cndmask_b32_e64 v2, -1, v32, s0
	v_and_or_b32 v0, 0xffffff1f, v0, 32
	v_readfirstlane_b32 s11, v7
	v_mov_b32_e32 v10, s16
	v_add_co_ci_u32_e64 v7, null, 0, v7, vcc_lo
	v_mov_b32_e32 v11, s17
	v_mov_b32_e32 v12, s18
	;; [unrolled: 1-line block ×3, first 2 shown]
	global_store_dwordx4 v30, v[0:3], s[10:11]
	global_store_dwordx4 v30, v[10:13], s[10:11] offset:16
	global_store_dwordx4 v30, v[10:13], s[10:11] offset:32
	;; [unrolled: 1-line block ×3, first 2 shown]
	s_and_saveexec_b32 s0, s1
	s_cbranch_execz .LBB3_181
; %bb.174:
	v_mov_b32_e32 v10, 0
	v_mov_b32_e32 v11, s8
	;; [unrolled: 1-line block ×3, first 2 shown]
	s_clause 0x1
	global_load_dwordx2 v[13:14], v10, s[6:7] offset:32 glc dlc
	global_load_dwordx2 v[0:1], v10, s[6:7] offset:40
	s_waitcnt vmcnt(0)
	v_readfirstlane_b32 s10, v0
	v_readfirstlane_b32 s11, v1
	s_and_b64 s[10:11], s[10:11], s[8:9]
	s_mul_i32 s11, s11, 24
	s_mul_hi_u32 s13, s10, 24
	s_mul_i32 s10, s10, 24
	s_add_i32 s13, s13, s11
	v_add_co_u32 v4, vcc_lo, v4, s10
	v_add_co_ci_u32_e64 v5, null, s13, v5, vcc_lo
	s_mov_b32 s10, exec_lo
	global_store_dwordx2 v[4:5], v[13:14], off
	s_waitcnt_vscnt null, 0x0
	global_atomic_cmpswap_x2 v[2:3], v10, v[11:14], s[6:7] offset:32 glc
	s_waitcnt vmcnt(0)
	v_cmpx_ne_u64_e64 v[2:3], v[13:14]
	s_cbranch_execz .LBB3_177
; %bb.175:
	s_mov_b32 s11, 0
.LBB3_176:                              ; =>This Inner Loop Header: Depth=1
	v_mov_b32_e32 v0, s8
	v_mov_b32_e32 v1, s9
	s_sleep 1
	global_store_dwordx2 v[4:5], v[2:3], off
	s_waitcnt_vscnt null, 0x0
	global_atomic_cmpswap_x2 v[0:1], v10, v[0:3], s[6:7] offset:32 glc
	s_waitcnt vmcnt(0)
	v_cmp_eq_u64_e32 vcc_lo, v[0:1], v[2:3]
	v_mov_b32_e32 v3, v1
	v_mov_b32_e32 v2, v0
	s_or_b32 s11, vcc_lo, s11
	s_andn2_b32 exec_lo, exec_lo, s11
	s_cbranch_execnz .LBB3_176
.LBB3_177:
	s_or_b32 exec_lo, exec_lo, s10
	v_mov_b32_e32 v3, 0
	s_mov_b32 s11, exec_lo
	s_mov_b32 s10, exec_lo
	v_mbcnt_lo_u32_b32 v2, s11, 0
	global_load_dwordx2 v[0:1], v3, s[6:7] offset:16
	v_cmpx_eq_u32_e32 0, v2
	s_cbranch_execz .LBB3_179
; %bb.178:
	s_bcnt1_i32_b32 s11, s11
	v_mov_b32_e32 v2, s11
	s_waitcnt vmcnt(0)
	global_atomic_add_x2 v[0:1], v[2:3], off offset:8
.LBB3_179:
	s_or_b32 exec_lo, exec_lo, s10
	s_waitcnt vmcnt(0)
	global_load_dwordx2 v[2:3], v[0:1], off offset:16
	s_waitcnt vmcnt(0)
	v_cmp_eq_u64_e32 vcc_lo, 0, v[2:3]
	s_cbranch_vccnz .LBB3_181
; %bb.180:
	global_load_dword v0, v[0:1], off offset:24
	v_mov_b32_e32 v1, 0
	s_waitcnt vmcnt(0)
	v_readfirstlane_b32 s10, v0
	s_waitcnt_vscnt null, 0x0
	global_store_dwordx2 v[2:3], v[0:1], off
	s_and_b32 m0, s10, 0x7fffff
	s_sendmsg sendmsg(MSG_INTERRUPT)
.LBB3_181:
	s_or_b32 exec_lo, exec_lo, s0
	s_branch .LBB3_185
	.p2align	6
.LBB3_182:                              ;   in Loop: Header=BB3_185 Depth=1
	s_or_b32 exec_lo, exec_lo, s0
	v_readfirstlane_b32 s0, v0
	s_cmp_eq_u32 s0, 0
	s_cbranch_scc1 .LBB3_184
; %bb.183:                              ;   in Loop: Header=BB3_185 Depth=1
	s_sleep 1
	s_cbranch_execnz .LBB3_185
	s_branch .LBB3_187
	.p2align	6
.LBB3_184:
	s_branch .LBB3_187
.LBB3_185:                              ; =>This Inner Loop Header: Depth=1
	v_mov_b32_e32 v0, 1
	s_and_saveexec_b32 s0, s1
	s_cbranch_execz .LBB3_182
; %bb.186:                              ;   in Loop: Header=BB3_185 Depth=1
	global_load_dword v0, v[8:9], off offset:20 glc dlc
	s_waitcnt vmcnt(0)
	buffer_gl1_inv
	buffer_gl0_inv
	v_and_b32_e32 v0, 1, v0
	s_branch .LBB3_182
.LBB3_187:
	global_load_dwordx2 v[0:1], v[6:7], off
	s_and_saveexec_b32 s10, s1
	s_cbranch_execz .LBB3_191
; %bb.188:
	v_mov_b32_e32 v8, 0
	s_clause 0x2
	global_load_dwordx2 v[2:3], v8, s[6:7] offset:40
	global_load_dwordx2 v[11:12], v8, s[6:7] offset:24 glc dlc
	global_load_dwordx2 v[4:5], v8, s[6:7]
	s_waitcnt vmcnt(2)
	v_readfirstlane_b32 s14, v2
	v_readfirstlane_b32 s15, v3
	s_add_u32 s11, s14, 1
	s_addc_u32 s13, s15, 0
	s_add_u32 s0, s11, s8
	s_addc_u32 s1, s13, s9
	s_cmp_eq_u64 s[0:1], 0
	s_cselect_b32 s1, s13, s1
	s_cselect_b32 s0, s11, s0
	v_mov_b32_e32 v10, s1
	s_and_b64 s[8:9], s[0:1], s[14:15]
	v_mov_b32_e32 v9, s0
	s_mul_i32 s9, s9, 24
	s_mul_hi_u32 s11, s8, 24
	s_mul_i32 s8, s8, 24
	s_add_i32 s11, s11, s9
	s_waitcnt vmcnt(0)
	v_add_co_u32 v6, vcc_lo, v4, s8
	v_add_co_ci_u32_e64 v7, null, s11, v5, vcc_lo
	global_store_dwordx2 v[6:7], v[11:12], off
	s_waitcnt_vscnt null, 0x0
	global_atomic_cmpswap_x2 v[4:5], v8, v[9:12], s[6:7] offset:24 glc
	s_waitcnt vmcnt(0)
	v_cmp_ne_u64_e32 vcc_lo, v[4:5], v[11:12]
	s_and_b32 exec_lo, exec_lo, vcc_lo
	s_cbranch_execz .LBB3_191
; %bb.189:
	s_mov_b32 s8, 0
.LBB3_190:                              ; =>This Inner Loop Header: Depth=1
	v_mov_b32_e32 v2, s0
	v_mov_b32_e32 v3, s1
	s_sleep 1
	global_store_dwordx2 v[6:7], v[4:5], off
	s_waitcnt_vscnt null, 0x0
	global_atomic_cmpswap_x2 v[2:3], v8, v[2:5], s[6:7] offset:24 glc
	s_waitcnt vmcnt(0)
	v_cmp_eq_u64_e32 vcc_lo, v[2:3], v[4:5]
	v_mov_b32_e32 v5, v3
	v_mov_b32_e32 v4, v2
	s_or_b32 s8, vcc_lo, s8
	s_andn2_b32 exec_lo, exec_lo, s8
	s_cbranch_execnz .LBB3_190
.LBB3_191:
	s_or_b32 exec_lo, exec_lo, s10
	v_readfirstlane_b32 s0, v31
	v_mov_b32_e32 v8, 0
	v_mov_b32_e32 v9, 0
	v_cmp_eq_u32_e64 s0, s0, v31
	s_and_saveexec_b32 s1, s0
	s_cbranch_execz .LBB3_197
; %bb.192:
	v_mov_b32_e32 v2, 0
	s_mov_b32 s8, exec_lo
	global_load_dwordx2 v[5:6], v2, s[6:7] offset:24 glc dlc
	s_waitcnt vmcnt(0)
	buffer_gl1_inv
	buffer_gl0_inv
	s_clause 0x1
	global_load_dwordx2 v[3:4], v2, s[6:7] offset:40
	global_load_dwordx2 v[7:8], v2, s[6:7]
	s_waitcnt vmcnt(1)
	v_and_b32_e32 v4, v4, v6
	v_and_b32_e32 v3, v3, v5
	v_mul_lo_u32 v4, v4, 24
	v_mul_hi_u32 v9, v3, 24
	v_mul_lo_u32 v3, v3, 24
	v_add_nc_u32_e32 v4, v9, v4
	s_waitcnt vmcnt(0)
	v_add_co_u32 v3, vcc_lo, v7, v3
	v_add_co_ci_u32_e64 v4, null, v8, v4, vcc_lo
	global_load_dwordx2 v[3:4], v[3:4], off glc dlc
	s_waitcnt vmcnt(0)
	global_atomic_cmpswap_x2 v[8:9], v2, v[3:6], s[6:7] offset:24 glc
	s_waitcnt vmcnt(0)
	buffer_gl1_inv
	buffer_gl0_inv
	v_cmpx_ne_u64_e64 v[8:9], v[5:6]
	s_cbranch_execz .LBB3_196
; %bb.193:
	s_mov_b32 s9, 0
	.p2align	6
.LBB3_194:                              ; =>This Inner Loop Header: Depth=1
	s_sleep 1
	s_clause 0x1
	global_load_dwordx2 v[3:4], v2, s[6:7] offset:40
	global_load_dwordx2 v[10:11], v2, s[6:7]
	v_mov_b32_e32 v5, v8
	v_mov_b32_e32 v6, v9
	s_waitcnt vmcnt(1)
	v_and_b32_e32 v3, v3, v5
	v_and_b32_e32 v4, v4, v6
	s_waitcnt vmcnt(0)
	v_mad_u64_u32 v[7:8], null, v3, 24, v[10:11]
	v_mov_b32_e32 v3, v8
	v_mad_u64_u32 v[3:4], null, v4, 24, v[3:4]
	v_mov_b32_e32 v8, v3
	global_load_dwordx2 v[3:4], v[7:8], off glc dlc
	s_waitcnt vmcnt(0)
	global_atomic_cmpswap_x2 v[8:9], v2, v[3:6], s[6:7] offset:24 glc
	s_waitcnt vmcnt(0)
	buffer_gl1_inv
	buffer_gl0_inv
	v_cmp_eq_u64_e32 vcc_lo, v[8:9], v[5:6]
	s_or_b32 s9, vcc_lo, s9
	s_andn2_b32 exec_lo, exec_lo, s9
	s_cbranch_execnz .LBB3_194
; %bb.195:
	s_or_b32 exec_lo, exec_lo, s9
.LBB3_196:
	s_or_b32 exec_lo, exec_lo, s8
.LBB3_197:
	s_or_b32 exec_lo, exec_lo, s1
	v_mov_b32_e32 v3, 0
	v_readfirstlane_b32 s9, v9
	v_readfirstlane_b32 s8, v8
	s_mov_b32 s1, exec_lo
	s_clause 0x1
	global_load_dwordx2 v[10:11], v3, s[6:7] offset:40
	global_load_dwordx4 v[4:7], v3, s[6:7]
	s_waitcnt vmcnt(1)
	v_readfirstlane_b32 s10, v10
	v_readfirstlane_b32 s11, v11
	s_and_b64 s[10:11], s[10:11], s[8:9]
	s_mul_i32 s13, s11, 24
	s_mul_hi_u32 s14, s10, 24
	s_mul_i32 s15, s10, 24
	s_add_i32 s14, s14, s13
	s_waitcnt vmcnt(0)
	v_add_co_u32 v8, vcc_lo, v4, s15
	v_add_co_ci_u32_e64 v9, null, s14, v5, vcc_lo
	s_and_saveexec_b32 s13, s0
	s_cbranch_execz .LBB3_199
; %bb.198:
	v_mov_b32_e32 v2, s1
	v_mov_b32_e32 v11, v3
	;; [unrolled: 1-line block ×5, first 2 shown]
	global_store_dwordx4 v[8:9], v[10:13], off offset:8
.LBB3_199:
	s_or_b32 exec_lo, exec_lo, s13
	s_lshl_b64 s[10:11], s[10:11], 12
	s_mul_i32 s12, s12, s20
	v_add_co_u32 v6, vcc_lo, v6, s10
	v_add_co_ci_u32_e64 v7, null, s11, v7, vcc_lo
	s_lshr_b32 s1, s12, 1
	s_mov_b32 s12, 0
	v_and_or_b32 v0, 0xffffff1d, v0, 34
	s_mov_b32 s13, s12
	s_mov_b32 s14, s12
	;; [unrolled: 1-line block ×3, first 2 shown]
	v_mov_b32_e32 v2, s1
	v_readfirstlane_b32 s10, v6
	v_readfirstlane_b32 s11, v7
	v_mov_b32_e32 v10, s12
	v_mov_b32_e32 v11, s13
	;; [unrolled: 1-line block ×4, first 2 shown]
	global_store_dwordx4 v30, v[0:3], s[10:11]
	global_store_dwordx4 v30, v[10:13], s[10:11] offset:16
	global_store_dwordx4 v30, v[10:13], s[10:11] offset:32
	;; [unrolled: 1-line block ×3, first 2 shown]
	s_and_saveexec_b32 s1, s0
	s_cbranch_execz .LBB3_207
; %bb.200:
	v_mov_b32_e32 v6, 0
	v_mov_b32_e32 v10, s8
	;; [unrolled: 1-line block ×3, first 2 shown]
	s_clause 0x1
	global_load_dwordx2 v[12:13], v6, s[6:7] offset:32 glc dlc
	global_load_dwordx2 v[0:1], v6, s[6:7] offset:40
	s_waitcnt vmcnt(0)
	v_readfirstlane_b32 s10, v0
	v_readfirstlane_b32 s11, v1
	s_and_b64 s[10:11], s[10:11], s[8:9]
	s_mul_i32 s11, s11, 24
	s_mul_hi_u32 s12, s10, 24
	s_mul_i32 s10, s10, 24
	s_add_i32 s12, s12, s11
	v_add_co_u32 v4, vcc_lo, v4, s10
	v_add_co_ci_u32_e64 v5, null, s12, v5, vcc_lo
	s_mov_b32 s10, exec_lo
	global_store_dwordx2 v[4:5], v[12:13], off
	s_waitcnt_vscnt null, 0x0
	global_atomic_cmpswap_x2 v[2:3], v6, v[10:13], s[6:7] offset:32 glc
	s_waitcnt vmcnt(0)
	v_cmpx_ne_u64_e64 v[2:3], v[12:13]
	s_cbranch_execz .LBB3_203
; %bb.201:
	s_mov_b32 s11, 0
.LBB3_202:                              ; =>This Inner Loop Header: Depth=1
	v_mov_b32_e32 v0, s8
	v_mov_b32_e32 v1, s9
	s_sleep 1
	global_store_dwordx2 v[4:5], v[2:3], off
	s_waitcnt_vscnt null, 0x0
	global_atomic_cmpswap_x2 v[0:1], v6, v[0:3], s[6:7] offset:32 glc
	s_waitcnt vmcnt(0)
	v_cmp_eq_u64_e32 vcc_lo, v[0:1], v[2:3]
	v_mov_b32_e32 v3, v1
	v_mov_b32_e32 v2, v0
	s_or_b32 s11, vcc_lo, s11
	s_andn2_b32 exec_lo, exec_lo, s11
	s_cbranch_execnz .LBB3_202
.LBB3_203:
	s_or_b32 exec_lo, exec_lo, s10
	v_mov_b32_e32 v3, 0
	s_mov_b32 s11, exec_lo
	s_mov_b32 s10, exec_lo
	v_mbcnt_lo_u32_b32 v2, s11, 0
	global_load_dwordx2 v[0:1], v3, s[6:7] offset:16
	v_cmpx_eq_u32_e32 0, v2
	s_cbranch_execz .LBB3_205
; %bb.204:
	s_bcnt1_i32_b32 s11, s11
	v_mov_b32_e32 v2, s11
	s_waitcnt vmcnt(0)
	global_atomic_add_x2 v[0:1], v[2:3], off offset:8
.LBB3_205:
	s_or_b32 exec_lo, exec_lo, s10
	s_waitcnt vmcnt(0)
	global_load_dwordx2 v[2:3], v[0:1], off offset:16
	s_waitcnt vmcnt(0)
	v_cmp_eq_u64_e32 vcc_lo, 0, v[2:3]
	s_cbranch_vccnz .LBB3_207
; %bb.206:
	global_load_dword v0, v[0:1], off offset:24
	v_mov_b32_e32 v1, 0
	s_waitcnt vmcnt(0)
	v_readfirstlane_b32 s10, v0
	s_waitcnt_vscnt null, 0x0
	global_store_dwordx2 v[2:3], v[0:1], off
	s_and_b32 m0, s10, 0x7fffff
	s_sendmsg sendmsg(MSG_INTERRUPT)
.LBB3_207:
	s_or_b32 exec_lo, exec_lo, s1
	s_branch .LBB3_211
	.p2align	6
.LBB3_208:                              ;   in Loop: Header=BB3_211 Depth=1
	s_or_b32 exec_lo, exec_lo, s1
	v_readfirstlane_b32 s1, v0
	s_cmp_eq_u32 s1, 0
	s_cbranch_scc1 .LBB3_210
; %bb.209:                              ;   in Loop: Header=BB3_211 Depth=1
	s_sleep 1
	s_cbranch_execnz .LBB3_211
	s_branch .LBB3_213
	.p2align	6
.LBB3_210:
	s_branch .LBB3_213
.LBB3_211:                              ; =>This Inner Loop Header: Depth=1
	v_mov_b32_e32 v0, 1
	s_and_saveexec_b32 s1, s0
	s_cbranch_execz .LBB3_208
; %bb.212:                              ;   in Loop: Header=BB3_211 Depth=1
	global_load_dword v0, v[8:9], off offset:20 glc dlc
	s_waitcnt vmcnt(0)
	buffer_gl1_inv
	buffer_gl0_inv
	v_and_b32_e32 v0, 1, v0
	s_branch .LBB3_208
.LBB3_213:
	s_and_saveexec_b32 s10, s0
	s_cbranch_execz .LBB3_217
; %bb.214:
	v_mov_b32_e32 v6, 0
	s_clause 0x2
	global_load_dwordx2 v[0:1], v6, s[6:7] offset:40
	global_load_dwordx2 v[9:10], v6, s[6:7] offset:24 glc dlc
	global_load_dwordx2 v[2:3], v6, s[6:7]
	s_waitcnt vmcnt(2)
	v_readfirstlane_b32 s12, v0
	v_readfirstlane_b32 s13, v1
	s_add_u32 s11, s12, 1
	s_addc_u32 s14, s13, 0
	s_add_u32 s0, s11, s8
	s_addc_u32 s1, s14, s9
	s_cmp_eq_u64 s[0:1], 0
	s_cselect_b32 s1, s14, s1
	s_cselect_b32 s0, s11, s0
	v_mov_b32_e32 v8, s1
	s_and_b64 s[8:9], s[0:1], s[12:13]
	v_mov_b32_e32 v7, s0
	s_mul_i32 s9, s9, 24
	s_mul_hi_u32 s11, s8, 24
	s_mul_i32 s8, s8, 24
	s_add_i32 s11, s11, s9
	s_waitcnt vmcnt(0)
	v_add_co_u32 v4, vcc_lo, v2, s8
	v_add_co_ci_u32_e64 v5, null, s11, v3, vcc_lo
	global_store_dwordx2 v[4:5], v[9:10], off
	s_waitcnt_vscnt null, 0x0
	global_atomic_cmpswap_x2 v[2:3], v6, v[7:10], s[6:7] offset:24 glc
	s_waitcnt vmcnt(0)
	v_cmp_ne_u64_e32 vcc_lo, v[2:3], v[9:10]
	s_and_b32 exec_lo, exec_lo, vcc_lo
	s_cbranch_execz .LBB3_217
; %bb.215:
	s_mov_b32 s8, 0
.LBB3_216:                              ; =>This Inner Loop Header: Depth=1
	v_mov_b32_e32 v0, s0
	v_mov_b32_e32 v1, s1
	s_sleep 1
	global_store_dwordx2 v[4:5], v[2:3], off
	s_waitcnt_vscnt null, 0x0
	global_atomic_cmpswap_x2 v[0:1], v6, v[0:3], s[6:7] offset:24 glc
	s_waitcnt vmcnt(0)
	v_cmp_eq_u64_e32 vcc_lo, v[0:1], v[2:3]
	v_mov_b32_e32 v3, v1
	v_mov_b32_e32 v2, v0
	s_or_b32 s8, vcc_lo, s8
	s_andn2_b32 exec_lo, exec_lo, s8
	s_cbranch_execnz .LBB3_216
.LBB3_217:
	s_or_b32 exec_lo, exec_lo, s10
	v_readfirstlane_b32 s0, v31
	v_mov_b32_e32 v6, 0
	v_mov_b32_e32 v7, 0
	v_cmp_eq_u32_e64 s0, s0, v31
	s_and_saveexec_b32 s1, s0
	s_cbranch_execz .LBB3_223
; %bb.218:
	v_mov_b32_e32 v0, 0
	s_mov_b32 s8, exec_lo
	global_load_dwordx2 v[3:4], v0, s[6:7] offset:24 glc dlc
	s_waitcnt vmcnt(0)
	buffer_gl1_inv
	buffer_gl0_inv
	s_clause 0x1
	global_load_dwordx2 v[1:2], v0, s[6:7] offset:40
	global_load_dwordx2 v[5:6], v0, s[6:7]
	s_waitcnt vmcnt(1)
	v_and_b32_e32 v2, v2, v4
	v_and_b32_e32 v1, v1, v3
	v_mul_lo_u32 v2, v2, 24
	v_mul_hi_u32 v7, v1, 24
	v_mul_lo_u32 v1, v1, 24
	v_add_nc_u32_e32 v2, v7, v2
	s_waitcnt vmcnt(0)
	v_add_co_u32 v1, vcc_lo, v5, v1
	v_add_co_ci_u32_e64 v2, null, v6, v2, vcc_lo
	global_load_dwordx2 v[1:2], v[1:2], off glc dlc
	s_waitcnt vmcnt(0)
	global_atomic_cmpswap_x2 v[6:7], v0, v[1:4], s[6:7] offset:24 glc
	s_waitcnt vmcnt(0)
	buffer_gl1_inv
	buffer_gl0_inv
	v_cmpx_ne_u64_e64 v[6:7], v[3:4]
	s_cbranch_execz .LBB3_222
; %bb.219:
	s_mov_b32 s9, 0
	.p2align	6
.LBB3_220:                              ; =>This Inner Loop Header: Depth=1
	s_sleep 1
	s_clause 0x1
	global_load_dwordx2 v[1:2], v0, s[6:7] offset:40
	global_load_dwordx2 v[8:9], v0, s[6:7]
	v_mov_b32_e32 v3, v6
	v_mov_b32_e32 v4, v7
	s_waitcnt vmcnt(1)
	v_and_b32_e32 v1, v1, v3
	v_and_b32_e32 v2, v2, v4
	s_waitcnt vmcnt(0)
	v_mad_u64_u32 v[5:6], null, v1, 24, v[8:9]
	v_mov_b32_e32 v1, v6
	v_mad_u64_u32 v[1:2], null, v2, 24, v[1:2]
	v_mov_b32_e32 v6, v1
	global_load_dwordx2 v[1:2], v[5:6], off glc dlc
	s_waitcnt vmcnt(0)
	global_atomic_cmpswap_x2 v[6:7], v0, v[1:4], s[6:7] offset:24 glc
	s_waitcnt vmcnt(0)
	buffer_gl1_inv
	buffer_gl0_inv
	v_cmp_eq_u64_e32 vcc_lo, v[6:7], v[3:4]
	s_or_b32 s9, vcc_lo, s9
	s_andn2_b32 exec_lo, exec_lo, s9
	s_cbranch_execnz .LBB3_220
; %bb.221:
	s_or_b32 exec_lo, exec_lo, s9
.LBB3_222:
	s_or_b32 exec_lo, exec_lo, s8
.LBB3_223:
	s_or_b32 exec_lo, exec_lo, s1
	v_mov_b32_e32 v5, 0
	v_readfirstlane_b32 s9, v7
	v_readfirstlane_b32 s8, v6
	s_mov_b32 s1, exec_lo
	s_clause 0x1
	global_load_dwordx2 v[8:9], v5, s[6:7] offset:40
	global_load_dwordx4 v[0:3], v5, s[6:7]
	s_waitcnt vmcnt(1)
	v_readfirstlane_b32 s10, v8
	v_readfirstlane_b32 s11, v9
	s_and_b64 s[10:11], s[10:11], s[8:9]
	s_mul_i32 s12, s11, 24
	s_mul_hi_u32 s13, s10, 24
	s_mul_i32 s14, s10, 24
	s_add_i32 s13, s13, s12
	s_waitcnt vmcnt(0)
	v_add_co_u32 v8, vcc_lo, v0, s14
	v_add_co_ci_u32_e64 v9, null, s13, v1, vcc_lo
	s_and_saveexec_b32 s12, s0
	s_cbranch_execz .LBB3_225
; %bb.224:
	v_mov_b32_e32 v4, s1
	v_mov_b32_e32 v6, 2
	;; [unrolled: 1-line block ×3, first 2 shown]
	global_store_dwordx4 v[8:9], v[4:7], off offset:8
.LBB3_225:
	s_or_b32 exec_lo, exec_lo, s12
	s_lshl_b64 s[10:11], s[10:11], 12
	s_mov_b32 s12, 0
	v_add_co_u32 v2, vcc_lo, v2, s10
	v_add_co_ci_u32_e64 v3, null, s11, v3, vcc_lo
	s_mov_b32 s13, s12
	v_add_co_u32 v10, vcc_lo, v2, v30
	s_mov_b32 s14, s12
	s_mov_b32 s15, s12
	v_mov_b32_e32 v4, 33
	v_mov_b32_e32 v6, v5
	;; [unrolled: 1-line block ×3, first 2 shown]
	v_readfirstlane_b32 s10, v2
	v_readfirstlane_b32 s11, v3
	v_mov_b32_e32 v12, s12
	v_add_co_ci_u32_e64 v11, null, 0, v3, vcc_lo
	v_mov_b32_e32 v13, s13
	v_mov_b32_e32 v14, s14
	;; [unrolled: 1-line block ×3, first 2 shown]
	global_store_dwordx4 v30, v[4:7], s[10:11]
	global_store_dwordx4 v30, v[12:15], s[10:11] offset:16
	global_store_dwordx4 v30, v[12:15], s[10:11] offset:32
	;; [unrolled: 1-line block ×3, first 2 shown]
	s_and_saveexec_b32 s1, s0
	s_cbranch_execz .LBB3_233
; %bb.226:
	v_mov_b32_e32 v6, 0
	v_mov_b32_e32 v12, s8
	;; [unrolled: 1-line block ×3, first 2 shown]
	s_clause 0x1
	global_load_dwordx2 v[14:15], v6, s[6:7] offset:32 glc dlc
	global_load_dwordx2 v[2:3], v6, s[6:7] offset:40
	s_waitcnt vmcnt(0)
	v_readfirstlane_b32 s10, v2
	v_readfirstlane_b32 s11, v3
	s_and_b64 s[10:11], s[10:11], s[8:9]
	s_mul_i32 s11, s11, 24
	s_mul_hi_u32 s12, s10, 24
	s_mul_i32 s10, s10, 24
	s_add_i32 s12, s12, s11
	v_add_co_u32 v4, vcc_lo, v0, s10
	v_add_co_ci_u32_e64 v5, null, s12, v1, vcc_lo
	s_mov_b32 s10, exec_lo
	global_store_dwordx2 v[4:5], v[14:15], off
	s_waitcnt_vscnt null, 0x0
	global_atomic_cmpswap_x2 v[2:3], v6, v[12:15], s[6:7] offset:32 glc
	s_waitcnt vmcnt(0)
	v_cmpx_ne_u64_e64 v[2:3], v[14:15]
	s_cbranch_execz .LBB3_229
; %bb.227:
	s_mov_b32 s11, 0
.LBB3_228:                              ; =>This Inner Loop Header: Depth=1
	v_mov_b32_e32 v0, s8
	v_mov_b32_e32 v1, s9
	s_sleep 1
	global_store_dwordx2 v[4:5], v[2:3], off
	s_waitcnt_vscnt null, 0x0
	global_atomic_cmpswap_x2 v[0:1], v6, v[0:3], s[6:7] offset:32 glc
	s_waitcnt vmcnt(0)
	v_cmp_eq_u64_e32 vcc_lo, v[0:1], v[2:3]
	v_mov_b32_e32 v3, v1
	v_mov_b32_e32 v2, v0
	s_or_b32 s11, vcc_lo, s11
	s_andn2_b32 exec_lo, exec_lo, s11
	s_cbranch_execnz .LBB3_228
.LBB3_229:
	s_or_b32 exec_lo, exec_lo, s10
	v_mov_b32_e32 v3, 0
	s_mov_b32 s11, exec_lo
	s_mov_b32 s10, exec_lo
	v_mbcnt_lo_u32_b32 v2, s11, 0
	global_load_dwordx2 v[0:1], v3, s[6:7] offset:16
	v_cmpx_eq_u32_e32 0, v2
	s_cbranch_execz .LBB3_231
; %bb.230:
	s_bcnt1_i32_b32 s11, s11
	v_mov_b32_e32 v2, s11
	s_waitcnt vmcnt(0)
	global_atomic_add_x2 v[0:1], v[2:3], off offset:8
.LBB3_231:
	s_or_b32 exec_lo, exec_lo, s10
	s_waitcnt vmcnt(0)
	global_load_dwordx2 v[2:3], v[0:1], off offset:16
	s_waitcnt vmcnt(0)
	v_cmp_eq_u64_e32 vcc_lo, 0, v[2:3]
	s_cbranch_vccnz .LBB3_233
; %bb.232:
	global_load_dword v0, v[0:1], off offset:24
	v_mov_b32_e32 v1, 0
	s_waitcnt vmcnt(0)
	v_readfirstlane_b32 s10, v0
	s_waitcnt_vscnt null, 0x0
	global_store_dwordx2 v[2:3], v[0:1], off
	s_and_b32 m0, s10, 0x7fffff
	s_sendmsg sendmsg(MSG_INTERRUPT)
.LBB3_233:
	s_or_b32 exec_lo, exec_lo, s1
	s_branch .LBB3_237
	.p2align	6
.LBB3_234:                              ;   in Loop: Header=BB3_237 Depth=1
	s_or_b32 exec_lo, exec_lo, s1
	v_readfirstlane_b32 s1, v0
	s_cmp_eq_u32 s1, 0
	s_cbranch_scc1 .LBB3_236
; %bb.235:                              ;   in Loop: Header=BB3_237 Depth=1
	s_sleep 1
	s_cbranch_execnz .LBB3_237
	s_branch .LBB3_239
	.p2align	6
.LBB3_236:
	s_branch .LBB3_239
.LBB3_237:                              ; =>This Inner Loop Header: Depth=1
	v_mov_b32_e32 v0, 1
	s_and_saveexec_b32 s1, s0
	s_cbranch_execz .LBB3_234
; %bb.238:                              ;   in Loop: Header=BB3_237 Depth=1
	global_load_dword v0, v[8:9], off offset:20 glc dlc
	s_waitcnt vmcnt(0)
	buffer_gl1_inv
	buffer_gl0_inv
	v_and_b32_e32 v0, 1, v0
	s_branch .LBB3_234
.LBB3_239:
	global_load_dwordx2 v[0:1], v[10:11], off
	s_and_saveexec_b32 s10, s0
	s_cbranch_execz .LBB3_243
; %bb.240:
	v_mov_b32_e32 v8, 0
	s_clause 0x2
	global_load_dwordx2 v[2:3], v8, s[6:7] offset:40
	global_load_dwordx2 v[11:12], v8, s[6:7] offset:24 glc dlc
	global_load_dwordx2 v[4:5], v8, s[6:7]
	s_waitcnt vmcnt(2)
	v_readfirstlane_b32 s12, v2
	v_readfirstlane_b32 s13, v3
	s_add_u32 s11, s12, 1
	s_addc_u32 s14, s13, 0
	s_add_u32 s0, s11, s8
	s_addc_u32 s1, s14, s9
	s_cmp_eq_u64 s[0:1], 0
	s_cselect_b32 s1, s14, s1
	s_cselect_b32 s0, s11, s0
	v_mov_b32_e32 v10, s1
	s_and_b64 s[8:9], s[0:1], s[12:13]
	v_mov_b32_e32 v9, s0
	s_mul_i32 s9, s9, 24
	s_mul_hi_u32 s11, s8, 24
	s_mul_i32 s8, s8, 24
	s_add_i32 s11, s11, s9
	s_waitcnt vmcnt(0)
	v_add_co_u32 v6, vcc_lo, v4, s8
	v_add_co_ci_u32_e64 v7, null, s11, v5, vcc_lo
	global_store_dwordx2 v[6:7], v[11:12], off
	s_waitcnt_vscnt null, 0x0
	global_atomic_cmpswap_x2 v[4:5], v8, v[9:12], s[6:7] offset:24 glc
	s_waitcnt vmcnt(0)
	v_cmp_ne_u64_e32 vcc_lo, v[4:5], v[11:12]
	s_and_b32 exec_lo, exec_lo, vcc_lo
	s_cbranch_execz .LBB3_243
; %bb.241:
	s_mov_b32 s8, 0
.LBB3_242:                              ; =>This Inner Loop Header: Depth=1
	v_mov_b32_e32 v2, s0
	v_mov_b32_e32 v3, s1
	s_sleep 1
	global_store_dwordx2 v[6:7], v[4:5], off
	s_waitcnt_vscnt null, 0x0
	global_atomic_cmpswap_x2 v[2:3], v8, v[2:5], s[6:7] offset:24 glc
	s_waitcnt vmcnt(0)
	v_cmp_eq_u64_e32 vcc_lo, v[2:3], v[4:5]
	v_mov_b32_e32 v5, v3
	v_mov_b32_e32 v4, v2
	s_or_b32 s8, vcc_lo, s8
	s_andn2_b32 exec_lo, exec_lo, s8
	s_cbranch_execnz .LBB3_242
.LBB3_243:
	s_or_b32 exec_lo, exec_lo, s10
	s_getpc_b64 s[8:9]
	s_add_u32 s8, s8, .str.1@rel32@lo+4
	s_addc_u32 s9, s9, .str.1@rel32@hi+12
	s_cmp_lg_u64 s[8:9], 0
	s_cbranch_scc0 .LBB3_322
; %bb.244:
	s_waitcnt vmcnt(0)
	v_and_b32_e32 v32, 2, v0
	v_mov_b32_e32 v7, 0
	v_and_b32_e32 v2, -3, v0
	v_mov_b32_e32 v3, v1
	v_mov_b32_e32 v8, 2
	;; [unrolled: 1-line block ×3, first 2 shown]
	s_mov_b64 s[10:11], 48
	s_branch .LBB3_246
.LBB3_245:                              ;   in Loop: Header=BB3_246 Depth=1
	s_or_b32 exec_lo, exec_lo, s16
	s_sub_u32 s10, s10, s12
	s_subb_u32 s11, s11, s13
	s_add_u32 s8, s8, s12
	s_addc_u32 s9, s9, s13
	s_cmp_lg_u64 s[10:11], 0
	s_cbranch_scc0 .LBB3_321
.LBB3_246:                              ; =>This Loop Header: Depth=1
                                        ;     Child Loop BB3_249 Depth 2
                                        ;     Child Loop BB3_256 Depth 2
	;; [unrolled: 1-line block ×11, first 2 shown]
	v_cmp_lt_u64_e64 s0, s[10:11], 56
	v_cmp_gt_u64_e64 s14, s[10:11], 7
	s_and_b32 s0, s0, exec_lo
	s_cselect_b32 s13, s11, 0
	s_cselect_b32 s12, s10, 56
	s_add_u32 s0, s8, 8
	s_addc_u32 s1, s9, 0
	s_and_b32 vcc_lo, exec_lo, s14
	s_cbranch_vccnz .LBB3_251
; %bb.247:                              ;   in Loop: Header=BB3_246 Depth=1
	v_mov_b32_e32 v4, 0
	v_mov_b32_e32 v5, 0
	s_cmp_eq_u64 s[10:11], 0
	s_cbranch_scc1 .LBB3_250
; %bb.248:                              ;   in Loop: Header=BB3_246 Depth=1
	s_lshl_b64 s[0:1], s[12:13], 3
	s_mov_b64 s[14:15], 0
	s_mov_b64 s[16:17], s[8:9]
.LBB3_249:                              ;   Parent Loop BB3_246 Depth=1
                                        ; =>  This Inner Loop Header: Depth=2
	global_load_ubyte v6, v7, s[16:17]
	s_waitcnt vmcnt(0)
	v_and_b32_e32 v6, 0xffff, v6
	v_lshlrev_b64 v[10:11], s14, v[6:7]
	s_add_u32 s14, s14, 8
	s_addc_u32 s15, s15, 0
	s_add_u32 s16, s16, 1
	s_addc_u32 s17, s17, 0
	s_cmp_lg_u32 s0, s14
	v_or_b32_e32 v4, v10, v4
	v_or_b32_e32 v5, v11, v5
	s_cbranch_scc1 .LBB3_249
.LBB3_250:                              ;   in Loop: Header=BB3_246 Depth=1
	s_mov_b64 s[0:1], s[8:9]
	s_mov_b32 s18, 0
	s_cbranch_execz .LBB3_252
	s_branch .LBB3_253
.LBB3_251:                              ;   in Loop: Header=BB3_246 Depth=1
	s_mov_b32 s18, 0
.LBB3_252:                              ;   in Loop: Header=BB3_246 Depth=1
	global_load_dwordx2 v[4:5], v7, s[8:9]
	s_add_i32 s18, s12, -8
.LBB3_253:                              ;   in Loop: Header=BB3_246 Depth=1
	s_add_u32 s14, s0, 8
	s_addc_u32 s15, s1, 0
	s_cmp_gt_u32 s18, 7
	s_cbranch_scc1 .LBB3_258
; %bb.254:                              ;   in Loop: Header=BB3_246 Depth=1
	v_mov_b32_e32 v10, 0
	v_mov_b32_e32 v11, 0
	s_cmp_eq_u32 s18, 0
	s_cbranch_scc1 .LBB3_257
; %bb.255:                              ;   in Loop: Header=BB3_246 Depth=1
	s_mov_b64 s[14:15], 0
	s_mov_b64 s[16:17], 0
.LBB3_256:                              ;   Parent Loop BB3_246 Depth=1
                                        ; =>  This Inner Loop Header: Depth=2
	s_add_u32 s24, s0, s16
	s_addc_u32 s25, s1, s17
	s_add_u32 s16, s16, 1
	global_load_ubyte v6, v7, s[24:25]
	s_addc_u32 s17, s17, 0
	s_waitcnt vmcnt(0)
	v_and_b32_e32 v6, 0xffff, v6
	v_lshlrev_b64 v[12:13], s14, v[6:7]
	s_add_u32 s14, s14, 8
	s_addc_u32 s15, s15, 0
	s_cmp_lg_u32 s18, s16
	v_or_b32_e32 v10, v12, v10
	v_or_b32_e32 v11, v13, v11
	s_cbranch_scc1 .LBB3_256
.LBB3_257:                              ;   in Loop: Header=BB3_246 Depth=1
	s_mov_b64 s[14:15], s[0:1]
	s_mov_b32 s19, 0
	s_cbranch_execz .LBB3_259
	s_branch .LBB3_260
.LBB3_258:                              ;   in Loop: Header=BB3_246 Depth=1
                                        ; implicit-def: $vgpr10_vgpr11
	s_mov_b32 s19, 0
.LBB3_259:                              ;   in Loop: Header=BB3_246 Depth=1
	global_load_dwordx2 v[10:11], v7, s[0:1]
	s_add_i32 s19, s18, -8
.LBB3_260:                              ;   in Loop: Header=BB3_246 Depth=1
	s_add_u32 s0, s14, 8
	s_addc_u32 s1, s15, 0
	s_cmp_gt_u32 s19, 7
	s_cbranch_scc1 .LBB3_265
; %bb.261:                              ;   in Loop: Header=BB3_246 Depth=1
	v_mov_b32_e32 v12, 0
	v_mov_b32_e32 v13, 0
	s_cmp_eq_u32 s19, 0
	s_cbranch_scc1 .LBB3_264
; %bb.262:                              ;   in Loop: Header=BB3_246 Depth=1
	s_mov_b64 s[0:1], 0
	s_mov_b64 s[16:17], 0
.LBB3_263:                              ;   Parent Loop BB3_246 Depth=1
                                        ; =>  This Inner Loop Header: Depth=2
	s_add_u32 s24, s14, s16
	s_addc_u32 s25, s15, s17
	s_add_u32 s16, s16, 1
	global_load_ubyte v6, v7, s[24:25]
	s_addc_u32 s17, s17, 0
	s_waitcnt vmcnt(0)
	v_and_b32_e32 v6, 0xffff, v6
	v_lshlrev_b64 v[14:15], s0, v[6:7]
	s_add_u32 s0, s0, 8
	s_addc_u32 s1, s1, 0
	s_cmp_lg_u32 s19, s16
	v_or_b32_e32 v12, v14, v12
	v_or_b32_e32 v13, v15, v13
	s_cbranch_scc1 .LBB3_263
.LBB3_264:                              ;   in Loop: Header=BB3_246 Depth=1
	s_mov_b64 s[0:1], s[14:15]
	s_mov_b32 s18, 0
	s_cbranch_execz .LBB3_266
	s_branch .LBB3_267
.LBB3_265:                              ;   in Loop: Header=BB3_246 Depth=1
	s_mov_b32 s18, 0
.LBB3_266:                              ;   in Loop: Header=BB3_246 Depth=1
	global_load_dwordx2 v[12:13], v7, s[14:15]
	s_add_i32 s18, s19, -8
.LBB3_267:                              ;   in Loop: Header=BB3_246 Depth=1
	s_add_u32 s14, s0, 8
	s_addc_u32 s15, s1, 0
	s_cmp_gt_u32 s18, 7
	s_cbranch_scc1 .LBB3_272
; %bb.268:                              ;   in Loop: Header=BB3_246 Depth=1
	v_mov_b32_e32 v14, 0
	v_mov_b32_e32 v15, 0
	s_cmp_eq_u32 s18, 0
	s_cbranch_scc1 .LBB3_271
; %bb.269:                              ;   in Loop: Header=BB3_246 Depth=1
	s_mov_b64 s[14:15], 0
	s_mov_b64 s[16:17], 0
.LBB3_270:                              ;   Parent Loop BB3_246 Depth=1
                                        ; =>  This Inner Loop Header: Depth=2
	s_add_u32 s24, s0, s16
	s_addc_u32 s25, s1, s17
	s_add_u32 s16, s16, 1
	global_load_ubyte v6, v7, s[24:25]
	s_addc_u32 s17, s17, 0
	s_waitcnt vmcnt(0)
	v_and_b32_e32 v6, 0xffff, v6
	v_lshlrev_b64 v[16:17], s14, v[6:7]
	s_add_u32 s14, s14, 8
	s_addc_u32 s15, s15, 0
	s_cmp_lg_u32 s18, s16
	v_or_b32_e32 v14, v16, v14
	v_or_b32_e32 v15, v17, v15
	s_cbranch_scc1 .LBB3_270
.LBB3_271:                              ;   in Loop: Header=BB3_246 Depth=1
	s_mov_b64 s[14:15], s[0:1]
	s_mov_b32 s19, 0
	s_cbranch_execz .LBB3_273
	s_branch .LBB3_274
.LBB3_272:                              ;   in Loop: Header=BB3_246 Depth=1
                                        ; implicit-def: $vgpr14_vgpr15
	s_mov_b32 s19, 0
.LBB3_273:                              ;   in Loop: Header=BB3_246 Depth=1
	global_load_dwordx2 v[14:15], v7, s[0:1]
	s_add_i32 s19, s18, -8
.LBB3_274:                              ;   in Loop: Header=BB3_246 Depth=1
	s_add_u32 s0, s14, 8
	s_addc_u32 s1, s15, 0
	s_cmp_gt_u32 s19, 7
	s_cbranch_scc1 .LBB3_279
; %bb.275:                              ;   in Loop: Header=BB3_246 Depth=1
	v_mov_b32_e32 v16, 0
	v_mov_b32_e32 v17, 0
	s_cmp_eq_u32 s19, 0
	s_cbranch_scc1 .LBB3_278
; %bb.276:                              ;   in Loop: Header=BB3_246 Depth=1
	s_mov_b64 s[0:1], 0
	s_mov_b64 s[16:17], 0
.LBB3_277:                              ;   Parent Loop BB3_246 Depth=1
                                        ; =>  This Inner Loop Header: Depth=2
	s_add_u32 s24, s14, s16
	s_addc_u32 s25, s15, s17
	s_add_u32 s16, s16, 1
	global_load_ubyte v6, v7, s[24:25]
	s_addc_u32 s17, s17, 0
	s_waitcnt vmcnt(0)
	v_and_b32_e32 v6, 0xffff, v6
	v_lshlrev_b64 v[18:19], s0, v[6:7]
	s_add_u32 s0, s0, 8
	s_addc_u32 s1, s1, 0
	s_cmp_lg_u32 s19, s16
	v_or_b32_e32 v16, v18, v16
	v_or_b32_e32 v17, v19, v17
	s_cbranch_scc1 .LBB3_277
.LBB3_278:                              ;   in Loop: Header=BB3_246 Depth=1
	s_mov_b64 s[0:1], s[14:15]
	s_mov_b32 s18, 0
	s_cbranch_execz .LBB3_280
	s_branch .LBB3_281
.LBB3_279:                              ;   in Loop: Header=BB3_246 Depth=1
	s_mov_b32 s18, 0
.LBB3_280:                              ;   in Loop: Header=BB3_246 Depth=1
	global_load_dwordx2 v[16:17], v7, s[14:15]
	s_add_i32 s18, s19, -8
.LBB3_281:                              ;   in Loop: Header=BB3_246 Depth=1
	s_add_u32 s14, s0, 8
	s_addc_u32 s15, s1, 0
	s_cmp_gt_u32 s18, 7
	s_cbranch_scc1 .LBB3_286
; %bb.282:                              ;   in Loop: Header=BB3_246 Depth=1
	v_mov_b32_e32 v18, 0
	v_mov_b32_e32 v19, 0
	s_cmp_eq_u32 s18, 0
	s_cbranch_scc1 .LBB3_285
; %bb.283:                              ;   in Loop: Header=BB3_246 Depth=1
	s_mov_b64 s[14:15], 0
	s_mov_b64 s[16:17], 0
.LBB3_284:                              ;   Parent Loop BB3_246 Depth=1
                                        ; =>  This Inner Loop Header: Depth=2
	s_add_u32 s24, s0, s16
	s_addc_u32 s25, s1, s17
	s_add_u32 s16, s16, 1
	global_load_ubyte v6, v7, s[24:25]
	s_addc_u32 s17, s17, 0
	s_waitcnt vmcnt(0)
	v_and_b32_e32 v6, 0xffff, v6
	v_lshlrev_b64 v[20:21], s14, v[6:7]
	s_add_u32 s14, s14, 8
	s_addc_u32 s15, s15, 0
	s_cmp_lg_u32 s18, s16
	v_or_b32_e32 v18, v20, v18
	v_or_b32_e32 v19, v21, v19
	s_cbranch_scc1 .LBB3_284
.LBB3_285:                              ;   in Loop: Header=BB3_246 Depth=1
	s_mov_b64 s[14:15], s[0:1]
	s_mov_b32 s19, 0
	s_cbranch_execz .LBB3_287
	s_branch .LBB3_288
.LBB3_286:                              ;   in Loop: Header=BB3_246 Depth=1
                                        ; implicit-def: $vgpr18_vgpr19
	s_mov_b32 s19, 0
.LBB3_287:                              ;   in Loop: Header=BB3_246 Depth=1
	global_load_dwordx2 v[18:19], v7, s[0:1]
	s_add_i32 s19, s18, -8
.LBB3_288:                              ;   in Loop: Header=BB3_246 Depth=1
	s_cmp_gt_u32 s19, 7
	s_cbranch_scc1 .LBB3_293
; %bb.289:                              ;   in Loop: Header=BB3_246 Depth=1
	v_mov_b32_e32 v20, 0
	v_mov_b32_e32 v21, 0
	s_cmp_eq_u32 s19, 0
	s_cbranch_scc1 .LBB3_292
; %bb.290:                              ;   in Loop: Header=BB3_246 Depth=1
	s_mov_b64 s[0:1], 0
	s_mov_b64 s[16:17], s[14:15]
.LBB3_291:                              ;   Parent Loop BB3_246 Depth=1
                                        ; =>  This Inner Loop Header: Depth=2
	global_load_ubyte v6, v7, s[16:17]
	s_add_i32 s19, s19, -1
	s_waitcnt vmcnt(0)
	v_and_b32_e32 v6, 0xffff, v6
	v_lshlrev_b64 v[22:23], s0, v[6:7]
	s_add_u32 s0, s0, 8
	s_addc_u32 s1, s1, 0
	s_add_u32 s16, s16, 1
	s_addc_u32 s17, s17, 0
	s_cmp_lg_u32 s19, 0
	v_or_b32_e32 v20, v22, v20
	v_or_b32_e32 v21, v23, v21
	s_cbranch_scc1 .LBB3_291
.LBB3_292:                              ;   in Loop: Header=BB3_246 Depth=1
	s_cbranch_execz .LBB3_294
	s_branch .LBB3_295
.LBB3_293:                              ;   in Loop: Header=BB3_246 Depth=1
.LBB3_294:                              ;   in Loop: Header=BB3_246 Depth=1
	global_load_dwordx2 v[20:21], v7, s[14:15]
.LBB3_295:                              ;   in Loop: Header=BB3_246 Depth=1
	v_readfirstlane_b32 s0, v31
	v_mov_b32_e32 v27, 0
	v_mov_b32_e32 v28, 0
	v_cmp_eq_u32_e64 s0, s0, v31
	s_and_saveexec_b32 s1, s0
	s_cbranch_execz .LBB3_301
; %bb.296:                              ;   in Loop: Header=BB3_246 Depth=1
	global_load_dwordx2 v[24:25], v7, s[6:7] offset:24 glc dlc
	s_waitcnt vmcnt(0)
	buffer_gl1_inv
	buffer_gl0_inv
	s_clause 0x1
	global_load_dwordx2 v[22:23], v7, s[6:7] offset:40
	global_load_dwordx2 v[27:28], v7, s[6:7]
	s_mov_b32 s14, exec_lo
	s_waitcnt vmcnt(1)
	v_and_b32_e32 v6, v23, v25
	v_and_b32_e32 v22, v22, v24
	v_mul_lo_u32 v6, v6, 24
	v_mul_hi_u32 v23, v22, 24
	v_mul_lo_u32 v22, v22, 24
	v_add_nc_u32_e32 v6, v23, v6
	s_waitcnt vmcnt(0)
	v_add_co_u32 v22, vcc_lo, v27, v22
	v_add_co_ci_u32_e64 v23, null, v28, v6, vcc_lo
	global_load_dwordx2 v[22:23], v[22:23], off glc dlc
	s_waitcnt vmcnt(0)
	global_atomic_cmpswap_x2 v[27:28], v7, v[22:25], s[6:7] offset:24 glc
	s_waitcnt vmcnt(0)
	buffer_gl1_inv
	buffer_gl0_inv
	v_cmpx_ne_u64_e64 v[27:28], v[24:25]
	s_cbranch_execz .LBB3_300
; %bb.297:                              ;   in Loop: Header=BB3_246 Depth=1
	s_mov_b32 s15, 0
	.p2align	6
.LBB3_298:                              ;   Parent Loop BB3_246 Depth=1
                                        ; =>  This Inner Loop Header: Depth=2
	s_sleep 1
	s_clause 0x1
	global_load_dwordx2 v[22:23], v7, s[6:7] offset:40
	global_load_dwordx2 v[33:34], v7, s[6:7]
	v_mov_b32_e32 v24, v27
	v_mov_b32_e32 v25, v28
	s_waitcnt vmcnt(1)
	v_and_b32_e32 v6, v22, v24
	v_and_b32_e32 v22, v23, v25
	s_waitcnt vmcnt(0)
	v_mad_u64_u32 v[27:28], null, v6, 24, v[33:34]
	v_mov_b32_e32 v6, v28
	v_mad_u64_u32 v[22:23], null, v22, 24, v[6:7]
	v_mov_b32_e32 v28, v22
	global_load_dwordx2 v[22:23], v[27:28], off glc dlc
	s_waitcnt vmcnt(0)
	global_atomic_cmpswap_x2 v[27:28], v7, v[22:25], s[6:7] offset:24 glc
	s_waitcnt vmcnt(0)
	buffer_gl1_inv
	buffer_gl0_inv
	v_cmp_eq_u64_e32 vcc_lo, v[27:28], v[24:25]
	s_or_b32 s15, vcc_lo, s15
	s_andn2_b32 exec_lo, exec_lo, s15
	s_cbranch_execnz .LBB3_298
; %bb.299:                              ;   in Loop: Header=BB3_246 Depth=1
	s_or_b32 exec_lo, exec_lo, s15
.LBB3_300:                              ;   in Loop: Header=BB3_246 Depth=1
	s_or_b32 exec_lo, exec_lo, s14
.LBB3_301:                              ;   in Loop: Header=BB3_246 Depth=1
	s_or_b32 exec_lo, exec_lo, s1
	s_clause 0x1
	global_load_dwordx2 v[33:34], v7, s[6:7] offset:40
	global_load_dwordx4 v[22:25], v7, s[6:7]
	v_readfirstlane_b32 s15, v28
	v_readfirstlane_b32 s14, v27
	s_mov_b32 s1, exec_lo
	s_waitcnt vmcnt(1)
	v_readfirstlane_b32 s16, v33
	v_readfirstlane_b32 s17, v34
	s_and_b64 s[16:17], s[16:17], s[14:15]
	s_mul_i32 s18, s17, 24
	s_mul_hi_u32 s19, s16, 24
	s_mul_i32 s24, s16, 24
	s_add_i32 s19, s19, s18
	s_waitcnt vmcnt(0)
	v_add_co_u32 v27, vcc_lo, v22, s24
	v_add_co_ci_u32_e64 v28, null, s19, v23, vcc_lo
	s_and_saveexec_b32 s18, s0
	s_cbranch_execz .LBB3_303
; %bb.302:                              ;   in Loop: Header=BB3_246 Depth=1
	v_mov_b32_e32 v6, s1
	global_store_dwordx4 v[27:28], v[6:9], off offset:8
.LBB3_303:                              ;   in Loop: Header=BB3_246 Depth=1
	s_or_b32 exec_lo, exec_lo, s18
	v_cmp_lt_u64_e64 vcc_lo, s[10:11], 57
	s_lshl_b64 s[16:17], s[16:17], 12
	v_and_b32_e32 v2, 0xffffff1f, v2
	s_lshl_b32 s1, s12, 2
	s_add_i32 s1, s1, 28
	v_cndmask_b32_e32 v6, 0, v32, vcc_lo
	v_add_co_u32 v24, vcc_lo, v24, s16
	v_add_co_ci_u32_e64 v25, null, s17, v25, vcc_lo
	v_or_b32_e32 v2, v2, v6
	v_readfirstlane_b32 s16, v24
	v_readfirstlane_b32 s17, v25
	v_and_or_b32 v2, 0x1e0, s1, v2
	global_store_dwordx4 v30, v[10:13], s[16:17] offset:16
	global_store_dwordx4 v30, v[2:5], s[16:17]
	global_store_dwordx4 v30, v[14:17], s[16:17] offset:32
	global_store_dwordx4 v30, v[18:21], s[16:17] offset:48
	s_and_saveexec_b32 s1, s0
	s_cbranch_execz .LBB3_311
; %bb.304:                              ;   in Loop: Header=BB3_246 Depth=1
	s_clause 0x1
	global_load_dwordx2 v[14:15], v7, s[6:7] offset:32 glc dlc
	global_load_dwordx2 v[2:3], v7, s[6:7] offset:40
	v_mov_b32_e32 v12, s14
	v_mov_b32_e32 v13, s15
	s_waitcnt vmcnt(0)
	v_readfirstlane_b32 s16, v2
	v_readfirstlane_b32 s17, v3
	s_and_b64 s[16:17], s[16:17], s[14:15]
	s_mul_i32 s17, s17, 24
	s_mul_hi_u32 s18, s16, 24
	s_mul_i32 s16, s16, 24
	s_add_i32 s18, s18, s17
	v_add_co_u32 v10, vcc_lo, v22, s16
	v_add_co_ci_u32_e64 v11, null, s18, v23, vcc_lo
	s_mov_b32 s16, exec_lo
	global_store_dwordx2 v[10:11], v[14:15], off
	s_waitcnt_vscnt null, 0x0
	global_atomic_cmpswap_x2 v[4:5], v7, v[12:15], s[6:7] offset:32 glc
	s_waitcnt vmcnt(0)
	v_cmpx_ne_u64_e64 v[4:5], v[14:15]
	s_cbranch_execz .LBB3_307
; %bb.305:                              ;   in Loop: Header=BB3_246 Depth=1
	s_mov_b32 s17, 0
.LBB3_306:                              ;   Parent Loop BB3_246 Depth=1
                                        ; =>  This Inner Loop Header: Depth=2
	v_mov_b32_e32 v2, s14
	v_mov_b32_e32 v3, s15
	s_sleep 1
	global_store_dwordx2 v[10:11], v[4:5], off
	s_waitcnt_vscnt null, 0x0
	global_atomic_cmpswap_x2 v[2:3], v7, v[2:5], s[6:7] offset:32 glc
	s_waitcnt vmcnt(0)
	v_cmp_eq_u64_e32 vcc_lo, v[2:3], v[4:5]
	v_mov_b32_e32 v5, v3
	v_mov_b32_e32 v4, v2
	s_or_b32 s17, vcc_lo, s17
	s_andn2_b32 exec_lo, exec_lo, s17
	s_cbranch_execnz .LBB3_306
.LBB3_307:                              ;   in Loop: Header=BB3_246 Depth=1
	s_or_b32 exec_lo, exec_lo, s16
	global_load_dwordx2 v[2:3], v7, s[6:7] offset:16
	s_mov_b32 s17, exec_lo
	s_mov_b32 s16, exec_lo
	v_mbcnt_lo_u32_b32 v4, s17, 0
	v_cmpx_eq_u32_e32 0, v4
	s_cbranch_execz .LBB3_309
; %bb.308:                              ;   in Loop: Header=BB3_246 Depth=1
	s_bcnt1_i32_b32 s17, s17
	v_mov_b32_e32 v6, s17
	s_waitcnt vmcnt(0)
	global_atomic_add_x2 v[2:3], v[6:7], off offset:8
.LBB3_309:                              ;   in Loop: Header=BB3_246 Depth=1
	s_or_b32 exec_lo, exec_lo, s16
	s_waitcnt vmcnt(0)
	global_load_dwordx2 v[4:5], v[2:3], off offset:16
	s_waitcnt vmcnt(0)
	v_cmp_eq_u64_e32 vcc_lo, 0, v[4:5]
	s_cbranch_vccnz .LBB3_311
; %bb.310:                              ;   in Loop: Header=BB3_246 Depth=1
	global_load_dword v6, v[2:3], off offset:24
	s_waitcnt vmcnt(0)
	v_readfirstlane_b32 s16, v6
	s_waitcnt_vscnt null, 0x0
	global_store_dwordx2 v[4:5], v[6:7], off
	s_and_b32 m0, s16, 0x7fffff
	s_sendmsg sendmsg(MSG_INTERRUPT)
.LBB3_311:                              ;   in Loop: Header=BB3_246 Depth=1
	s_or_b32 exec_lo, exec_lo, s1
	v_add_co_u32 v2, vcc_lo, v24, v30
	v_add_co_ci_u32_e64 v3, null, 0, v25, vcc_lo
	s_branch .LBB3_315
	.p2align	6
.LBB3_312:                              ;   in Loop: Header=BB3_315 Depth=2
	s_or_b32 exec_lo, exec_lo, s1
	v_readfirstlane_b32 s1, v4
	s_cmp_eq_u32 s1, 0
	s_cbranch_scc1 .LBB3_314
; %bb.313:                              ;   in Loop: Header=BB3_315 Depth=2
	s_sleep 1
	s_cbranch_execnz .LBB3_315
	s_branch .LBB3_317
	.p2align	6
.LBB3_314:                              ;   in Loop: Header=BB3_246 Depth=1
	s_branch .LBB3_317
.LBB3_315:                              ;   Parent Loop BB3_246 Depth=1
                                        ; =>  This Inner Loop Header: Depth=2
	v_mov_b32_e32 v4, 1
	s_and_saveexec_b32 s1, s0
	s_cbranch_execz .LBB3_312
; %bb.316:                              ;   in Loop: Header=BB3_315 Depth=2
	global_load_dword v4, v[27:28], off offset:20 glc dlc
	s_waitcnt vmcnt(0)
	buffer_gl1_inv
	buffer_gl0_inv
	v_and_b32_e32 v4, 1, v4
	s_branch .LBB3_312
.LBB3_317:                              ;   in Loop: Header=BB3_246 Depth=1
	global_load_dwordx2 v[2:3], v[2:3], off
	s_and_saveexec_b32 s16, s0
	s_cbranch_execz .LBB3_245
; %bb.318:                              ;   in Loop: Header=BB3_246 Depth=1
	s_clause 0x2
	global_load_dwordx2 v[4:5], v7, s[6:7] offset:40
	global_load_dwordx2 v[14:15], v7, s[6:7] offset:24 glc dlc
	global_load_dwordx2 v[10:11], v7, s[6:7]
	s_waitcnt vmcnt(2)
	v_readfirstlane_b32 s18, v4
	v_readfirstlane_b32 s19, v5
	s_add_u32 s17, s18, 1
	s_addc_u32 s24, s19, 0
	s_add_u32 s0, s17, s14
	s_addc_u32 s1, s24, s15
	s_cmp_eq_u64 s[0:1], 0
	s_cselect_b32 s1, s24, s1
	s_cselect_b32 s0, s17, s0
	v_mov_b32_e32 v13, s1
	s_and_b64 s[14:15], s[0:1], s[18:19]
	v_mov_b32_e32 v12, s0
	s_mul_i32 s15, s15, 24
	s_mul_hi_u32 s17, s14, 24
	s_mul_i32 s14, s14, 24
	s_add_i32 s17, s17, s15
	s_waitcnt vmcnt(0)
	v_add_co_u32 v4, vcc_lo, v10, s14
	v_add_co_ci_u32_e64 v5, null, s17, v11, vcc_lo
	global_store_dwordx2 v[4:5], v[14:15], off
	s_waitcnt_vscnt null, 0x0
	global_atomic_cmpswap_x2 v[12:13], v7, v[12:15], s[6:7] offset:24 glc
	s_waitcnt vmcnt(0)
	v_cmp_ne_u64_e32 vcc_lo, v[12:13], v[14:15]
	s_and_b32 exec_lo, exec_lo, vcc_lo
	s_cbranch_execz .LBB3_245
; %bb.319:                              ;   in Loop: Header=BB3_246 Depth=1
	s_mov_b32 s14, 0
.LBB3_320:                              ;   Parent Loop BB3_246 Depth=1
                                        ; =>  This Inner Loop Header: Depth=2
	v_mov_b32_e32 v10, s0
	v_mov_b32_e32 v11, s1
	s_sleep 1
	global_store_dwordx2 v[4:5], v[12:13], off
	s_waitcnt_vscnt null, 0x0
	global_atomic_cmpswap_x2 v[10:11], v7, v[10:13], s[6:7] offset:24 glc
	s_waitcnt vmcnt(0)
	v_cmp_eq_u64_e32 vcc_lo, v[10:11], v[12:13]
	v_mov_b32_e32 v13, v11
	v_mov_b32_e32 v12, v10
	s_or_b32 s14, vcc_lo, s14
	s_andn2_b32 exec_lo, exec_lo, s14
	s_cbranch_execnz .LBB3_320
	s_branch .LBB3_245
.LBB3_321:
	s_branch .LBB3_350
.LBB3_322:
                                        ; implicit-def: $vgpr2_vgpr3
	s_cbranch_execz .LBB3_350
; %bb.323:
	v_readfirstlane_b32 s0, v31
	v_mov_b32_e32 v8, 0
	v_mov_b32_e32 v9, 0
	v_cmp_eq_u32_e64 s0, s0, v31
	s_and_saveexec_b32 s1, s0
	s_cbranch_execz .LBB3_329
; %bb.324:
	s_waitcnt vmcnt(0)
	v_mov_b32_e32 v2, 0
	s_mov_b32 s8, exec_lo
	global_load_dwordx2 v[5:6], v2, s[6:7] offset:24 glc dlc
	s_waitcnt vmcnt(0)
	buffer_gl1_inv
	buffer_gl0_inv
	s_clause 0x1
	global_load_dwordx2 v[3:4], v2, s[6:7] offset:40
	global_load_dwordx2 v[7:8], v2, s[6:7]
	s_waitcnt vmcnt(1)
	v_and_b32_e32 v4, v4, v6
	v_and_b32_e32 v3, v3, v5
	v_mul_lo_u32 v4, v4, 24
	v_mul_hi_u32 v9, v3, 24
	v_mul_lo_u32 v3, v3, 24
	v_add_nc_u32_e32 v4, v9, v4
	s_waitcnt vmcnt(0)
	v_add_co_u32 v3, vcc_lo, v7, v3
	v_add_co_ci_u32_e64 v4, null, v8, v4, vcc_lo
	global_load_dwordx2 v[3:4], v[3:4], off glc dlc
	s_waitcnt vmcnt(0)
	global_atomic_cmpswap_x2 v[8:9], v2, v[3:6], s[6:7] offset:24 glc
	s_waitcnt vmcnt(0)
	buffer_gl1_inv
	buffer_gl0_inv
	v_cmpx_ne_u64_e64 v[8:9], v[5:6]
	s_cbranch_execz .LBB3_328
; %bb.325:
	s_mov_b32 s9, 0
	.p2align	6
.LBB3_326:                              ; =>This Inner Loop Header: Depth=1
	s_sleep 1
	s_clause 0x1
	global_load_dwordx2 v[3:4], v2, s[6:7] offset:40
	global_load_dwordx2 v[10:11], v2, s[6:7]
	v_mov_b32_e32 v5, v8
	v_mov_b32_e32 v6, v9
	s_waitcnt vmcnt(1)
	v_and_b32_e32 v3, v3, v5
	v_and_b32_e32 v4, v4, v6
	s_waitcnt vmcnt(0)
	v_mad_u64_u32 v[7:8], null, v3, 24, v[10:11]
	v_mov_b32_e32 v3, v8
	v_mad_u64_u32 v[3:4], null, v4, 24, v[3:4]
	v_mov_b32_e32 v8, v3
	global_load_dwordx2 v[3:4], v[7:8], off glc dlc
	s_waitcnt vmcnt(0)
	global_atomic_cmpswap_x2 v[8:9], v2, v[3:6], s[6:7] offset:24 glc
	s_waitcnt vmcnt(0)
	buffer_gl1_inv
	buffer_gl0_inv
	v_cmp_eq_u64_e32 vcc_lo, v[8:9], v[5:6]
	s_or_b32 s9, vcc_lo, s9
	s_andn2_b32 exec_lo, exec_lo, s9
	s_cbranch_execnz .LBB3_326
; %bb.327:
	s_or_b32 exec_lo, exec_lo, s9
.LBB3_328:
	s_or_b32 exec_lo, exec_lo, s8
.LBB3_329:
	s_or_b32 exec_lo, exec_lo, s1
	s_waitcnt vmcnt(0)
	v_mov_b32_e32 v2, 0
	v_readfirstlane_b32 s9, v9
	v_readfirstlane_b32 s8, v8
	s_mov_b32 s1, exec_lo
	s_clause 0x1
	global_load_dwordx2 v[10:11], v2, s[6:7] offset:40
	global_load_dwordx4 v[4:7], v2, s[6:7]
	s_waitcnt vmcnt(1)
	v_readfirstlane_b32 s10, v10
	v_readfirstlane_b32 s11, v11
	s_and_b64 s[10:11], s[10:11], s[8:9]
	s_mul_i32 s12, s11, 24
	s_mul_hi_u32 s13, s10, 24
	s_mul_i32 s14, s10, 24
	s_add_i32 s13, s13, s12
	s_waitcnt vmcnt(0)
	v_add_co_u32 v8, vcc_lo, v4, s14
	v_add_co_ci_u32_e64 v9, null, s13, v5, vcc_lo
	s_and_saveexec_b32 s12, s0
	s_cbranch_execz .LBB3_331
; %bb.330:
	v_mov_b32_e32 v10, s1
	v_mov_b32_e32 v11, v2
	;; [unrolled: 1-line block ×4, first 2 shown]
	global_store_dwordx4 v[8:9], v[10:13], off offset:8
.LBB3_331:
	s_or_b32 exec_lo, exec_lo, s12
	s_lshl_b64 s[10:11], s[10:11], 12
	s_mov_b32 s12, 0
	v_add_co_u32 v6, vcc_lo, v6, s10
	v_add_co_ci_u32_e64 v7, null, s11, v7, vcc_lo
	s_mov_b32 s13, s12
	v_readfirstlane_b32 s10, v6
	v_add_co_u32 v6, vcc_lo, v6, v30
	s_mov_b32 s14, s12
	s_mov_b32 s15, s12
	v_and_or_b32 v0, 0xffffff1f, v0, 32
	v_mov_b32_e32 v3, v2
	v_readfirstlane_b32 s11, v7
	v_mov_b32_e32 v10, s12
	v_add_co_ci_u32_e64 v7, null, 0, v7, vcc_lo
	v_mov_b32_e32 v11, s13
	v_mov_b32_e32 v12, s14
	;; [unrolled: 1-line block ×3, first 2 shown]
	global_store_dwordx4 v30, v[0:3], s[10:11]
	global_store_dwordx4 v30, v[10:13], s[10:11] offset:16
	global_store_dwordx4 v30, v[10:13], s[10:11] offset:32
	;; [unrolled: 1-line block ×3, first 2 shown]
	s_and_saveexec_b32 s1, s0
	s_cbranch_execz .LBB3_339
; %bb.332:
	v_mov_b32_e32 v10, 0
	v_mov_b32_e32 v11, s8
	;; [unrolled: 1-line block ×3, first 2 shown]
	s_clause 0x1
	global_load_dwordx2 v[13:14], v10, s[6:7] offset:32 glc dlc
	global_load_dwordx2 v[0:1], v10, s[6:7] offset:40
	s_waitcnt vmcnt(0)
	v_readfirstlane_b32 s10, v0
	v_readfirstlane_b32 s11, v1
	s_and_b64 s[10:11], s[10:11], s[8:9]
	s_mul_i32 s11, s11, 24
	s_mul_hi_u32 s12, s10, 24
	s_mul_i32 s10, s10, 24
	s_add_i32 s12, s12, s11
	v_add_co_u32 v4, vcc_lo, v4, s10
	v_add_co_ci_u32_e64 v5, null, s12, v5, vcc_lo
	s_mov_b32 s10, exec_lo
	global_store_dwordx2 v[4:5], v[13:14], off
	s_waitcnt_vscnt null, 0x0
	global_atomic_cmpswap_x2 v[2:3], v10, v[11:14], s[6:7] offset:32 glc
	s_waitcnt vmcnt(0)
	v_cmpx_ne_u64_e64 v[2:3], v[13:14]
	s_cbranch_execz .LBB3_335
; %bb.333:
	s_mov_b32 s11, 0
.LBB3_334:                              ; =>This Inner Loop Header: Depth=1
	v_mov_b32_e32 v0, s8
	v_mov_b32_e32 v1, s9
	s_sleep 1
	global_store_dwordx2 v[4:5], v[2:3], off
	s_waitcnt_vscnt null, 0x0
	global_atomic_cmpswap_x2 v[0:1], v10, v[0:3], s[6:7] offset:32 glc
	s_waitcnt vmcnt(0)
	v_cmp_eq_u64_e32 vcc_lo, v[0:1], v[2:3]
	v_mov_b32_e32 v3, v1
	v_mov_b32_e32 v2, v0
	s_or_b32 s11, vcc_lo, s11
	s_andn2_b32 exec_lo, exec_lo, s11
	s_cbranch_execnz .LBB3_334
.LBB3_335:
	s_or_b32 exec_lo, exec_lo, s10
	v_mov_b32_e32 v3, 0
	s_mov_b32 s11, exec_lo
	s_mov_b32 s10, exec_lo
	v_mbcnt_lo_u32_b32 v2, s11, 0
	global_load_dwordx2 v[0:1], v3, s[6:7] offset:16
	v_cmpx_eq_u32_e32 0, v2
	s_cbranch_execz .LBB3_337
; %bb.336:
	s_bcnt1_i32_b32 s11, s11
	v_mov_b32_e32 v2, s11
	s_waitcnt vmcnt(0)
	global_atomic_add_x2 v[0:1], v[2:3], off offset:8
.LBB3_337:
	s_or_b32 exec_lo, exec_lo, s10
	s_waitcnt vmcnt(0)
	global_load_dwordx2 v[2:3], v[0:1], off offset:16
	s_waitcnt vmcnt(0)
	v_cmp_eq_u64_e32 vcc_lo, 0, v[2:3]
	s_cbranch_vccnz .LBB3_339
; %bb.338:
	global_load_dword v0, v[0:1], off offset:24
	v_mov_b32_e32 v1, 0
	s_waitcnt vmcnt(0)
	v_readfirstlane_b32 s10, v0
	s_waitcnt_vscnt null, 0x0
	global_store_dwordx2 v[2:3], v[0:1], off
	s_and_b32 m0, s10, 0x7fffff
	s_sendmsg sendmsg(MSG_INTERRUPT)
.LBB3_339:
	s_or_b32 exec_lo, exec_lo, s1
	s_branch .LBB3_343
	.p2align	6
.LBB3_340:                              ;   in Loop: Header=BB3_343 Depth=1
	s_or_b32 exec_lo, exec_lo, s1
	v_readfirstlane_b32 s1, v0
	s_cmp_eq_u32 s1, 0
	s_cbranch_scc1 .LBB3_342
; %bb.341:                              ;   in Loop: Header=BB3_343 Depth=1
	s_sleep 1
	s_cbranch_execnz .LBB3_343
	s_branch .LBB3_345
	.p2align	6
.LBB3_342:
	s_branch .LBB3_345
.LBB3_343:                              ; =>This Inner Loop Header: Depth=1
	v_mov_b32_e32 v0, 1
	s_and_saveexec_b32 s1, s0
	s_cbranch_execz .LBB3_340
; %bb.344:                              ;   in Loop: Header=BB3_343 Depth=1
	global_load_dword v0, v[8:9], off offset:20 glc dlc
	s_waitcnt vmcnt(0)
	buffer_gl1_inv
	buffer_gl0_inv
	v_and_b32_e32 v0, 1, v0
	s_branch .LBB3_340
.LBB3_345:
	global_load_dwordx2 v[2:3], v[6:7], off
	s_and_saveexec_b32 s10, s0
	s_cbranch_execz .LBB3_349
; %bb.346:
	v_mov_b32_e32 v8, 0
	s_clause 0x2
	global_load_dwordx2 v[0:1], v8, s[6:7] offset:40
	global_load_dwordx2 v[11:12], v8, s[6:7] offset:24 glc dlc
	global_load_dwordx2 v[4:5], v8, s[6:7]
	s_waitcnt vmcnt(2)
	v_readfirstlane_b32 s12, v0
	v_readfirstlane_b32 s13, v1
	s_add_u32 s11, s12, 1
	s_addc_u32 s14, s13, 0
	s_add_u32 s0, s11, s8
	s_addc_u32 s1, s14, s9
	s_cmp_eq_u64 s[0:1], 0
	s_cselect_b32 s1, s14, s1
	s_cselect_b32 s0, s11, s0
	v_mov_b32_e32 v10, s1
	s_and_b64 s[8:9], s[0:1], s[12:13]
	v_mov_b32_e32 v9, s0
	s_mul_i32 s9, s9, 24
	s_mul_hi_u32 s11, s8, 24
	s_mul_i32 s8, s8, 24
	s_add_i32 s11, s11, s9
	s_waitcnt vmcnt(0)
	v_add_co_u32 v0, vcc_lo, v4, s8
	v_add_co_ci_u32_e64 v1, null, s11, v5, vcc_lo
	global_store_dwordx2 v[0:1], v[11:12], off
	s_waitcnt_vscnt null, 0x0
	global_atomic_cmpswap_x2 v[6:7], v8, v[9:12], s[6:7] offset:24 glc
	s_waitcnt vmcnt(0)
	v_cmp_ne_u64_e32 vcc_lo, v[6:7], v[11:12]
	s_and_b32 exec_lo, exec_lo, vcc_lo
	s_cbranch_execz .LBB3_349
; %bb.347:
	s_mov_b32 s8, 0
.LBB3_348:                              ; =>This Inner Loop Header: Depth=1
	v_mov_b32_e32 v4, s0
	v_mov_b32_e32 v5, s1
	s_sleep 1
	global_store_dwordx2 v[0:1], v[6:7], off
	s_waitcnt_vscnt null, 0x0
	global_atomic_cmpswap_x2 v[4:5], v8, v[4:7], s[6:7] offset:24 glc
	s_waitcnt vmcnt(0)
	v_cmp_eq_u64_e32 vcc_lo, v[4:5], v[6:7]
	v_mov_b32_e32 v7, v5
	v_mov_b32_e32 v6, v4
	s_or_b32 s8, vcc_lo, s8
	s_andn2_b32 exec_lo, exec_lo, s8
	s_cbranch_execnz .LBB3_348
.LBB3_349:
	s_or_b32 exec_lo, exec_lo, s10
.LBB3_350:
	v_readfirstlane_b32 s0, v31
	s_waitcnt vmcnt(0)
	v_mov_b32_e32 v0, 0
	v_mov_b32_e32 v1, 0
	v_cmp_eq_u32_e64 s0, s0, v31
	s_and_saveexec_b32 s1, s0
	s_cbranch_execz .LBB3_356
; %bb.351:
	v_mov_b32_e32 v4, 0
	s_mov_b32 s8, exec_lo
	global_load_dwordx2 v[7:8], v4, s[6:7] offset:24 glc dlc
	s_waitcnt vmcnt(0)
	buffer_gl1_inv
	buffer_gl0_inv
	s_clause 0x1
	global_load_dwordx2 v[0:1], v4, s[6:7] offset:40
	global_load_dwordx2 v[5:6], v4, s[6:7]
	s_waitcnt vmcnt(1)
	v_and_b32_e32 v1, v1, v8
	v_and_b32_e32 v0, v0, v7
	v_mul_lo_u32 v1, v1, 24
	v_mul_hi_u32 v9, v0, 24
	v_mul_lo_u32 v0, v0, 24
	v_add_nc_u32_e32 v1, v9, v1
	s_waitcnt vmcnt(0)
	v_add_co_u32 v0, vcc_lo, v5, v0
	v_add_co_ci_u32_e64 v1, null, v6, v1, vcc_lo
	global_load_dwordx2 v[5:6], v[0:1], off glc dlc
	s_waitcnt vmcnt(0)
	global_atomic_cmpswap_x2 v[0:1], v4, v[5:8], s[6:7] offset:24 glc
	s_waitcnt vmcnt(0)
	buffer_gl1_inv
	buffer_gl0_inv
	v_cmpx_ne_u64_e64 v[0:1], v[7:8]
	s_cbranch_execz .LBB3_355
; %bb.352:
	s_mov_b32 s9, 0
	.p2align	6
.LBB3_353:                              ; =>This Inner Loop Header: Depth=1
	s_sleep 1
	s_clause 0x1
	global_load_dwordx2 v[5:6], v4, s[6:7] offset:40
	global_load_dwordx2 v[9:10], v4, s[6:7]
	v_mov_b32_e32 v8, v1
	v_mov_b32_e32 v7, v0
	s_waitcnt vmcnt(1)
	v_and_b32_e32 v0, v5, v7
	v_and_b32_e32 v5, v6, v8
	s_waitcnt vmcnt(0)
	v_mad_u64_u32 v[0:1], null, v0, 24, v[9:10]
	v_mad_u64_u32 v[5:6], null, v5, 24, v[1:2]
	v_mov_b32_e32 v1, v5
	global_load_dwordx2 v[5:6], v[0:1], off glc dlc
	s_waitcnt vmcnt(0)
	global_atomic_cmpswap_x2 v[0:1], v4, v[5:8], s[6:7] offset:24 glc
	s_waitcnt vmcnt(0)
	buffer_gl1_inv
	buffer_gl0_inv
	v_cmp_eq_u64_e32 vcc_lo, v[0:1], v[7:8]
	s_or_b32 s9, vcc_lo, s9
	s_andn2_b32 exec_lo, exec_lo, s9
	s_cbranch_execnz .LBB3_353
; %bb.354:
	s_or_b32 exec_lo, exec_lo, s9
.LBB3_355:
	s_or_b32 exec_lo, exec_lo, s8
.LBB3_356:
	s_or_b32 exec_lo, exec_lo, s1
	v_mov_b32_e32 v5, 0
	v_readfirstlane_b32 s9, v1
	v_readfirstlane_b32 s8, v0
	s_mov_b32 s1, exec_lo
	s_clause 0x1
	global_load_dwordx2 v[10:11], v5, s[6:7] offset:40
	global_load_dwordx4 v[6:9], v5, s[6:7]
	s_waitcnt vmcnt(1)
	v_readfirstlane_b32 s10, v10
	v_readfirstlane_b32 s11, v11
	s_and_b64 s[10:11], s[10:11], s[8:9]
	s_mul_i32 s12, s11, 24
	s_mul_hi_u32 s13, s10, 24
	s_mul_i32 s14, s10, 24
	s_add_i32 s13, s13, s12
	s_waitcnt vmcnt(0)
	v_add_co_u32 v10, vcc_lo, v6, s14
	v_add_co_ci_u32_e64 v11, null, s13, v7, vcc_lo
	s_and_saveexec_b32 s12, s0
	s_cbranch_execz .LBB3_358
; %bb.357:
	v_mov_b32_e32 v4, s1
	v_mov_b32_e32 v13, v5
	;; [unrolled: 1-line block ×5, first 2 shown]
	global_store_dwordx4 v[10:11], v[12:15], off offset:8
.LBB3_358:
	s_or_b32 exec_lo, exec_lo, s12
	s_lshl_b64 s[10:11], s[10:11], 12
	s_mov_b32 s12, 0
	v_add_co_u32 v0, vcc_lo, v8, s10
	v_add_co_ci_u32_e64 v1, null, s11, v9, vcc_lo
	s_lshr_b32 s1, s20, 2
	v_add_co_u32 v8, vcc_lo, v0, v30
	s_mov_b32 s13, s12
	s_mov_b32 s14, s12
	;; [unrolled: 1-line block ×3, first 2 shown]
	v_and_or_b32 v2, 0xffffff1f, v2, 32
	v_mov_b32_e32 v4, s1
	v_readfirstlane_b32 s10, v0
	v_readfirstlane_b32 s11, v1
	v_mov_b32_e32 v12, s12
	v_add_co_ci_u32_e64 v9, null, 0, v1, vcc_lo
	v_mov_b32_e32 v13, s13
	v_mov_b32_e32 v14, s14
	;; [unrolled: 1-line block ×3, first 2 shown]
	global_store_dwordx4 v30, v[2:5], s[10:11]
	global_store_dwordx4 v30, v[12:15], s[10:11] offset:16
	global_store_dwordx4 v30, v[12:15], s[10:11] offset:32
	;; [unrolled: 1-line block ×3, first 2 shown]
	s_and_saveexec_b32 s1, s0
	s_cbranch_execz .LBB3_366
; %bb.359:
	v_mov_b32_e32 v12, 0
	v_mov_b32_e32 v13, s8
	v_mov_b32_e32 v14, s9
	s_clause 0x1
	global_load_dwordx2 v[15:16], v12, s[6:7] offset:32 glc dlc
	global_load_dwordx2 v[0:1], v12, s[6:7] offset:40
	s_waitcnt vmcnt(0)
	v_readfirstlane_b32 s10, v0
	v_readfirstlane_b32 s11, v1
	s_and_b64 s[10:11], s[10:11], s[8:9]
	s_mul_i32 s11, s11, 24
	s_mul_hi_u32 s12, s10, 24
	s_mul_i32 s10, s10, 24
	s_add_i32 s12, s12, s11
	v_add_co_u32 v4, vcc_lo, v6, s10
	v_add_co_ci_u32_e64 v5, null, s12, v7, vcc_lo
	s_mov_b32 s10, exec_lo
	global_store_dwordx2 v[4:5], v[15:16], off
	s_waitcnt_vscnt null, 0x0
	global_atomic_cmpswap_x2 v[2:3], v12, v[13:16], s[6:7] offset:32 glc
	s_waitcnt vmcnt(0)
	v_cmpx_ne_u64_e64 v[2:3], v[15:16]
	s_cbranch_execz .LBB3_362
; %bb.360:
	s_mov_b32 s11, 0
.LBB3_361:                              ; =>This Inner Loop Header: Depth=1
	v_mov_b32_e32 v0, s8
	v_mov_b32_e32 v1, s9
	s_sleep 1
	global_store_dwordx2 v[4:5], v[2:3], off
	s_waitcnt_vscnt null, 0x0
	global_atomic_cmpswap_x2 v[0:1], v12, v[0:3], s[6:7] offset:32 glc
	s_waitcnt vmcnt(0)
	v_cmp_eq_u64_e32 vcc_lo, v[0:1], v[2:3]
	v_mov_b32_e32 v3, v1
	v_mov_b32_e32 v2, v0
	s_or_b32 s11, vcc_lo, s11
	s_andn2_b32 exec_lo, exec_lo, s11
	s_cbranch_execnz .LBB3_361
.LBB3_362:
	s_or_b32 exec_lo, exec_lo, s10
	v_mov_b32_e32 v3, 0
	s_mov_b32 s11, exec_lo
	s_mov_b32 s10, exec_lo
	v_mbcnt_lo_u32_b32 v2, s11, 0
	global_load_dwordx2 v[0:1], v3, s[6:7] offset:16
	v_cmpx_eq_u32_e32 0, v2
	s_cbranch_execz .LBB3_364
; %bb.363:
	s_bcnt1_i32_b32 s11, s11
	v_mov_b32_e32 v2, s11
	s_waitcnt vmcnt(0)
	global_atomic_add_x2 v[0:1], v[2:3], off offset:8
.LBB3_364:
	s_or_b32 exec_lo, exec_lo, s10
	s_waitcnt vmcnt(0)
	global_load_dwordx2 v[2:3], v[0:1], off offset:16
	s_waitcnt vmcnt(0)
	v_cmp_eq_u64_e32 vcc_lo, 0, v[2:3]
	s_cbranch_vccnz .LBB3_366
; %bb.365:
	global_load_dword v0, v[0:1], off offset:24
	v_mov_b32_e32 v1, 0
	s_waitcnt vmcnt(0)
	v_readfirstlane_b32 s10, v0
	s_waitcnt_vscnt null, 0x0
	global_store_dwordx2 v[2:3], v[0:1], off
	s_and_b32 m0, s10, 0x7fffff
	s_sendmsg sendmsg(MSG_INTERRUPT)
.LBB3_366:
	s_or_b32 exec_lo, exec_lo, s1
	s_branch .LBB3_370
	.p2align	6
.LBB3_367:                              ;   in Loop: Header=BB3_370 Depth=1
	s_or_b32 exec_lo, exec_lo, s1
	v_readfirstlane_b32 s1, v0
	s_cmp_eq_u32 s1, 0
	s_cbranch_scc1 .LBB3_369
; %bb.368:                              ;   in Loop: Header=BB3_370 Depth=1
	s_sleep 1
	s_cbranch_execnz .LBB3_370
	s_branch .LBB3_372
	.p2align	6
.LBB3_369:
	s_branch .LBB3_372
.LBB3_370:                              ; =>This Inner Loop Header: Depth=1
	v_mov_b32_e32 v0, 1
	s_and_saveexec_b32 s1, s0
	s_cbranch_execz .LBB3_367
; %bb.371:                              ;   in Loop: Header=BB3_370 Depth=1
	global_load_dword v0, v[10:11], off offset:20 glc dlc
	s_waitcnt vmcnt(0)
	buffer_gl1_inv
	buffer_gl0_inv
	v_and_b32_e32 v0, 1, v0
	s_branch .LBB3_367
.LBB3_372:
	global_load_dwordx2 v[0:1], v[8:9], off
	s_and_saveexec_b32 s10, s0
	s_cbranch_execz .LBB3_376
; %bb.373:
	v_mov_b32_e32 v8, 0
	s_clause 0x2
	global_load_dwordx2 v[2:3], v8, s[6:7] offset:40
	global_load_dwordx2 v[11:12], v8, s[6:7] offset:24 glc dlc
	global_load_dwordx2 v[4:5], v8, s[6:7]
	s_waitcnt vmcnt(2)
	v_readfirstlane_b32 s12, v2
	v_readfirstlane_b32 s13, v3
	s_add_u32 s11, s12, 1
	s_addc_u32 s14, s13, 0
	s_add_u32 s0, s11, s8
	s_addc_u32 s1, s14, s9
	s_cmp_eq_u64 s[0:1], 0
	s_cselect_b32 s1, s14, s1
	s_cselect_b32 s0, s11, s0
	v_mov_b32_e32 v10, s1
	s_and_b64 s[8:9], s[0:1], s[12:13]
	v_mov_b32_e32 v9, s0
	s_mul_i32 s9, s9, 24
	s_mul_hi_u32 s11, s8, 24
	s_mul_i32 s8, s8, 24
	s_add_i32 s11, s11, s9
	s_waitcnt vmcnt(0)
	v_add_co_u32 v6, vcc_lo, v4, s8
	v_add_co_ci_u32_e64 v7, null, s11, v5, vcc_lo
	global_store_dwordx2 v[6:7], v[11:12], off
	s_waitcnt_vscnt null, 0x0
	global_atomic_cmpswap_x2 v[4:5], v8, v[9:12], s[6:7] offset:24 glc
	s_waitcnt vmcnt(0)
	v_cmp_ne_u64_e32 vcc_lo, v[4:5], v[11:12]
	s_and_b32 exec_lo, exec_lo, vcc_lo
	s_cbranch_execz .LBB3_376
; %bb.374:
	s_mov_b32 s8, 0
.LBB3_375:                              ; =>This Inner Loop Header: Depth=1
	v_mov_b32_e32 v2, s0
	v_mov_b32_e32 v3, s1
	s_sleep 1
	global_store_dwordx2 v[6:7], v[4:5], off
	s_waitcnt_vscnt null, 0x0
	global_atomic_cmpswap_x2 v[2:3], v8, v[2:5], s[6:7] offset:24 glc
	s_waitcnt vmcnt(0)
	v_cmp_eq_u64_e32 vcc_lo, v[2:3], v[4:5]
	v_mov_b32_e32 v5, v3
	v_mov_b32_e32 v4, v2
	s_or_b32 s8, vcc_lo, s8
	s_andn2_b32 exec_lo, exec_lo, s8
	s_cbranch_execnz .LBB3_375
.LBB3_376:
	s_or_b32 exec_lo, exec_lo, s10
	v_readfirstlane_b32 s0, v31
	v_mov_b32_e32 v8, 0
	v_mov_b32_e32 v9, 0
	v_cmp_eq_u32_e64 s0, s0, v31
	s_and_saveexec_b32 s1, s0
	s_cbranch_execz .LBB3_382
; %bb.377:
	v_mov_b32_e32 v2, 0
	s_mov_b32 s8, exec_lo
	global_load_dwordx2 v[5:6], v2, s[6:7] offset:24 glc dlc
	s_waitcnt vmcnt(0)
	buffer_gl1_inv
	buffer_gl0_inv
	s_clause 0x1
	global_load_dwordx2 v[3:4], v2, s[6:7] offset:40
	global_load_dwordx2 v[7:8], v2, s[6:7]
	s_waitcnt vmcnt(1)
	v_and_b32_e32 v4, v4, v6
	v_and_b32_e32 v3, v3, v5
	v_mul_lo_u32 v4, v4, 24
	v_mul_hi_u32 v9, v3, 24
	v_mul_lo_u32 v3, v3, 24
	v_add_nc_u32_e32 v4, v9, v4
	s_waitcnt vmcnt(0)
	v_add_co_u32 v3, vcc_lo, v7, v3
	v_add_co_ci_u32_e64 v4, null, v8, v4, vcc_lo
	global_load_dwordx2 v[3:4], v[3:4], off glc dlc
	s_waitcnt vmcnt(0)
	global_atomic_cmpswap_x2 v[8:9], v2, v[3:6], s[6:7] offset:24 glc
	s_waitcnt vmcnt(0)
	buffer_gl1_inv
	buffer_gl0_inv
	v_cmpx_ne_u64_e64 v[8:9], v[5:6]
	s_cbranch_execz .LBB3_381
; %bb.378:
	s_mov_b32 s9, 0
	.p2align	6
.LBB3_379:                              ; =>This Inner Loop Header: Depth=1
	s_sleep 1
	s_clause 0x1
	global_load_dwordx2 v[3:4], v2, s[6:7] offset:40
	global_load_dwordx2 v[10:11], v2, s[6:7]
	v_mov_b32_e32 v5, v8
	v_mov_b32_e32 v6, v9
	s_waitcnt vmcnt(1)
	v_and_b32_e32 v3, v3, v5
	v_and_b32_e32 v4, v4, v6
	s_waitcnt vmcnt(0)
	v_mad_u64_u32 v[7:8], null, v3, 24, v[10:11]
	v_mov_b32_e32 v3, v8
	v_mad_u64_u32 v[3:4], null, v4, 24, v[3:4]
	v_mov_b32_e32 v8, v3
	global_load_dwordx2 v[3:4], v[7:8], off glc dlc
	s_waitcnt vmcnt(0)
	global_atomic_cmpswap_x2 v[8:9], v2, v[3:6], s[6:7] offset:24 glc
	s_waitcnt vmcnt(0)
	buffer_gl1_inv
	buffer_gl0_inv
	v_cmp_eq_u64_e32 vcc_lo, v[8:9], v[5:6]
	s_or_b32 s9, vcc_lo, s9
	s_andn2_b32 exec_lo, exec_lo, s9
	s_cbranch_execnz .LBB3_379
; %bb.380:
	s_or_b32 exec_lo, exec_lo, s9
.LBB3_381:
	s_or_b32 exec_lo, exec_lo, s8
.LBB3_382:
	s_or_b32 exec_lo, exec_lo, s1
	v_mov_b32_e32 v3, 0
	v_readfirstlane_b32 s9, v9
	v_readfirstlane_b32 s8, v8
	s_mov_b32 s1, exec_lo
	s_clause 0x1
	global_load_dwordx2 v[10:11], v3, s[6:7] offset:40
	global_load_dwordx4 v[4:7], v3, s[6:7]
	s_waitcnt vmcnt(1)
	v_readfirstlane_b32 s10, v10
	v_readfirstlane_b32 s11, v11
	s_and_b64 s[10:11], s[10:11], s[8:9]
	s_mul_i32 s12, s11, 24
	s_mul_hi_u32 s13, s10, 24
	s_mul_i32 s14, s10, 24
	s_add_i32 s13, s13, s12
	s_waitcnt vmcnt(0)
	v_add_co_u32 v8, vcc_lo, v4, s14
	v_add_co_ci_u32_e64 v9, null, s13, v5, vcc_lo
	s_and_saveexec_b32 s12, s0
	s_cbranch_execz .LBB3_384
; %bb.383:
	v_mov_b32_e32 v2, s1
	v_mov_b32_e32 v11, v3
	;; [unrolled: 1-line block ×5, first 2 shown]
	global_store_dwordx4 v[8:9], v[10:13], off offset:8
.LBB3_384:
	s_or_b32 exec_lo, exec_lo, s12
	s_lshl_b64 s[10:11], s[10:11], 12
	s_mov_b32 s12, 0
	v_add_co_u32 v6, vcc_lo, v6, s10
	v_add_co_ci_u32_e64 v7, null, s11, v7, vcc_lo
	s_mov_b32 s13, s12
	s_mov_b32 s14, s12
	;; [unrolled: 1-line block ×3, first 2 shown]
	v_and_or_b32 v0, 0xffffff1d, v0, 34
	v_mov_b32_e32 v2, 4
	v_readfirstlane_b32 s10, v6
	v_readfirstlane_b32 s11, v7
	v_mov_b32_e32 v10, s12
	v_mov_b32_e32 v11, s13
	;; [unrolled: 1-line block ×4, first 2 shown]
	global_store_dwordx4 v30, v[0:3], s[10:11]
	global_store_dwordx4 v30, v[10:13], s[10:11] offset:16
	global_store_dwordx4 v30, v[10:13], s[10:11] offset:32
	;; [unrolled: 1-line block ×3, first 2 shown]
	s_and_saveexec_b32 s1, s0
	s_cbranch_execz .LBB3_392
; %bb.385:
	v_mov_b32_e32 v6, 0
	v_mov_b32_e32 v10, s8
	;; [unrolled: 1-line block ×3, first 2 shown]
	s_clause 0x1
	global_load_dwordx2 v[12:13], v6, s[6:7] offset:32 glc dlc
	global_load_dwordx2 v[0:1], v6, s[6:7] offset:40
	s_waitcnt vmcnt(0)
	v_readfirstlane_b32 s10, v0
	v_readfirstlane_b32 s11, v1
	s_and_b64 s[10:11], s[10:11], s[8:9]
	s_mul_i32 s11, s11, 24
	s_mul_hi_u32 s12, s10, 24
	s_mul_i32 s10, s10, 24
	s_add_i32 s12, s12, s11
	v_add_co_u32 v4, vcc_lo, v4, s10
	v_add_co_ci_u32_e64 v5, null, s12, v5, vcc_lo
	s_mov_b32 s10, exec_lo
	global_store_dwordx2 v[4:5], v[12:13], off
	s_waitcnt_vscnt null, 0x0
	global_atomic_cmpswap_x2 v[2:3], v6, v[10:13], s[6:7] offset:32 glc
	s_waitcnt vmcnt(0)
	v_cmpx_ne_u64_e64 v[2:3], v[12:13]
	s_cbranch_execz .LBB3_388
; %bb.386:
	s_mov_b32 s11, 0
.LBB3_387:                              ; =>This Inner Loop Header: Depth=1
	v_mov_b32_e32 v0, s8
	v_mov_b32_e32 v1, s9
	s_sleep 1
	global_store_dwordx2 v[4:5], v[2:3], off
	s_waitcnt_vscnt null, 0x0
	global_atomic_cmpswap_x2 v[0:1], v6, v[0:3], s[6:7] offset:32 glc
	s_waitcnt vmcnt(0)
	v_cmp_eq_u64_e32 vcc_lo, v[0:1], v[2:3]
	v_mov_b32_e32 v3, v1
	v_mov_b32_e32 v2, v0
	s_or_b32 s11, vcc_lo, s11
	s_andn2_b32 exec_lo, exec_lo, s11
	s_cbranch_execnz .LBB3_387
.LBB3_388:
	s_or_b32 exec_lo, exec_lo, s10
	v_mov_b32_e32 v3, 0
	s_mov_b32 s11, exec_lo
	s_mov_b32 s10, exec_lo
	v_mbcnt_lo_u32_b32 v2, s11, 0
	global_load_dwordx2 v[0:1], v3, s[6:7] offset:16
	v_cmpx_eq_u32_e32 0, v2
	s_cbranch_execz .LBB3_390
; %bb.389:
	s_bcnt1_i32_b32 s11, s11
	v_mov_b32_e32 v2, s11
	s_waitcnt vmcnt(0)
	global_atomic_add_x2 v[0:1], v[2:3], off offset:8
.LBB3_390:
	s_or_b32 exec_lo, exec_lo, s10
	s_waitcnt vmcnt(0)
	global_load_dwordx2 v[2:3], v[0:1], off offset:16
	s_waitcnt vmcnt(0)
	v_cmp_eq_u64_e32 vcc_lo, 0, v[2:3]
	s_cbranch_vccnz .LBB3_392
; %bb.391:
	global_load_dword v0, v[0:1], off offset:24
	v_mov_b32_e32 v1, 0
	s_waitcnt vmcnt(0)
	v_readfirstlane_b32 s10, v0
	s_waitcnt_vscnt null, 0x0
	global_store_dwordx2 v[2:3], v[0:1], off
	s_and_b32 m0, s10, 0x7fffff
	s_sendmsg sendmsg(MSG_INTERRUPT)
.LBB3_392:
	s_or_b32 exec_lo, exec_lo, s1
	s_branch .LBB3_396
	.p2align	6
.LBB3_393:                              ;   in Loop: Header=BB3_396 Depth=1
	s_or_b32 exec_lo, exec_lo, s1
	v_readfirstlane_b32 s1, v0
	s_cmp_eq_u32 s1, 0
	s_cbranch_scc1 .LBB3_395
; %bb.394:                              ;   in Loop: Header=BB3_396 Depth=1
	s_sleep 1
	s_cbranch_execnz .LBB3_396
	s_branch .LBB3_398
	.p2align	6
.LBB3_395:
	s_branch .LBB3_398
.LBB3_396:                              ; =>This Inner Loop Header: Depth=1
	v_mov_b32_e32 v0, 1
	s_and_saveexec_b32 s1, s0
	s_cbranch_execz .LBB3_393
; %bb.397:                              ;   in Loop: Header=BB3_396 Depth=1
	global_load_dword v0, v[8:9], off offset:20 glc dlc
	s_waitcnt vmcnt(0)
	buffer_gl1_inv
	buffer_gl0_inv
	v_and_b32_e32 v0, 1, v0
	s_branch .LBB3_393
.LBB3_398:
	s_and_b32 exec_lo, exec_lo, s0
	s_cbranch_execz .LBB3_402
; %bb.399:
	v_mov_b32_e32 v6, 0
	s_clause 0x2
	global_load_dwordx2 v[0:1], v6, s[6:7] offset:40
	global_load_dwordx2 v[9:10], v6, s[6:7] offset:24 glc dlc
	global_load_dwordx2 v[2:3], v6, s[6:7]
	s_waitcnt vmcnt(2)
	v_readfirstlane_b32 s10, v0
	v_readfirstlane_b32 s11, v1
	s_add_u32 s12, s10, 1
	s_addc_u32 s13, s11, 0
	s_add_u32 s0, s12, s8
	s_addc_u32 s1, s13, s9
	s_cmp_eq_u64 s[0:1], 0
	s_cselect_b32 s1, s13, s1
	s_cselect_b32 s0, s12, s0
	v_mov_b32_e32 v8, s1
	s_and_b64 s[8:9], s[0:1], s[10:11]
	v_mov_b32_e32 v7, s0
	s_mul_i32 s9, s9, 24
	s_mul_hi_u32 s10, s8, 24
	s_mul_i32 s8, s8, 24
	s_add_i32 s10, s10, s9
	s_waitcnt vmcnt(0)
	v_add_co_u32 v4, vcc_lo, v2, s8
	v_add_co_ci_u32_e64 v5, null, s10, v3, vcc_lo
	global_store_dwordx2 v[4:5], v[9:10], off
	s_waitcnt_vscnt null, 0x0
	global_atomic_cmpswap_x2 v[2:3], v6, v[7:10], s[6:7] offset:24 glc
	s_waitcnt vmcnt(0)
	v_cmp_ne_u64_e32 vcc_lo, v[2:3], v[9:10]
	s_and_b32 exec_lo, exec_lo, vcc_lo
	s_cbranch_execz .LBB3_402
; %bb.400:
	s_mov_b32 s8, 0
.LBB3_401:                              ; =>This Inner Loop Header: Depth=1
	v_mov_b32_e32 v0, s0
	v_mov_b32_e32 v1, s1
	s_sleep 1
	global_store_dwordx2 v[4:5], v[2:3], off
	s_waitcnt_vscnt null, 0x0
	global_atomic_cmpswap_x2 v[0:1], v6, v[0:3], s[6:7] offset:24 glc
	s_waitcnt vmcnt(0)
	v_cmp_eq_u64_e32 vcc_lo, v[0:1], v[2:3]
	v_mov_b32_e32 v3, v1
	v_mov_b32_e32 v2, v0
	s_or_b32 s8, vcc_lo, s8
	s_andn2_b32 exec_lo, exec_lo, s8
	s_cbranch_execnz .LBB3_401
.LBB3_402:
	s_or_b32 exec_lo, exec_lo, s23
	v_and_b32_e32 v0, -4, v26
	v_and_b32_e32 v4, 3, v26
	s_mov_b32 s0, exec_lo
	s_waitcnt lgkmcnt(0)
	s_waitcnt_vscnt null, 0x0
	s_barrier
	v_ashrrev_i32_e32 v1, 31, v0
	v_lshlrev_b32_e32 v2, 2, v4
	buffer_gl0_inv
	v_lshlrev_b64 v[0:1], 2, v[0:1]
	v_add_co_u32 v0, vcc_lo, s22, v0
	v_add_co_ci_u32_e64 v1, null, s21, v1, vcc_lo
	v_add_co_u32 v2, vcc_lo, v0, v2
	v_add_co_ci_u32_e64 v3, null, 0, v1, vcc_lo
	flat_store_dword v[2:3], v26
	s_waitcnt lgkmcnt(0)
	s_waitcnt_vscnt null, 0x0
	buffer_gl1_inv
	buffer_gl0_inv
	v_cmpx_gt_u32_e32 2, v4
	s_cbranch_execz .LBB3_404
; %bb.403:
	flat_load_dword v5, v[2:3] offset:8
	s_waitcnt vmcnt(0) lgkmcnt(0)
	v_add_nc_u32_e32 v29, v5, v26
.LBB3_404:
	s_or_b32 exec_lo, exec_lo, s0
	v_cmp_eq_u32_e64 s0, 0, v4
	buffer_gl1_inv
	buffer_gl0_inv
	flat_store_dword v[2:3], v29
	s_waitcnt lgkmcnt(0)
	s_waitcnt_vscnt null, 0x0
	buffer_gl1_inv
	buffer_gl0_inv
	s_and_saveexec_b32 s1, s0
	s_cbranch_execnz .LBB3_407
; %bb.405:
	s_or_b32 exec_lo, exec_lo, s1
	buffer_gl1_inv
	buffer_gl0_inv
	s_and_saveexec_b32 s1, s0
	s_cbranch_execnz .LBB3_408
.LBB3_406:
	s_endpgm
.LBB3_407:
	flat_load_dword v0, v[0:1] offset:4
	s_waitcnt vmcnt(0) lgkmcnt(0)
	v_add_nc_u32_e32 v29, v0, v29
	s_or_b32 exec_lo, exec_lo, s1
	buffer_gl1_inv
	buffer_gl0_inv
	s_and_saveexec_b32 s1, s0
	s_cbranch_execz .LBB3_406
.LBB3_408:
	s_load_dwordx2 s[2:3], s[2:3], 0x50
	v_mbcnt_lo_u32_b32 v31, -1, 0
	v_mov_b32_e32 v6, 0
	v_mov_b32_e32 v7, 0
	v_readfirstlane_b32 s1, v31
	v_cmp_eq_u32_e64 s1, s1, v31
	s_and_saveexec_b32 s6, s1
	s_cbranch_execz .LBB3_414
; %bb.409:
	v_mov_b32_e32 v0, 0
	s_mov_b32 s7, exec_lo
	s_waitcnt lgkmcnt(0)
	global_load_dwordx2 v[3:4], v0, s[2:3] offset:24 glc dlc
	s_waitcnt vmcnt(0)
	buffer_gl1_inv
	buffer_gl0_inv
	s_clause 0x1
	global_load_dwordx2 v[1:2], v0, s[2:3] offset:40
	global_load_dwordx2 v[5:6], v0, s[2:3]
	s_waitcnt vmcnt(1)
	v_and_b32_e32 v2, v2, v4
	v_and_b32_e32 v1, v1, v3
	v_mul_lo_u32 v2, v2, 24
	v_mul_hi_u32 v7, v1, 24
	v_mul_lo_u32 v1, v1, 24
	v_add_nc_u32_e32 v2, v7, v2
	s_waitcnt vmcnt(0)
	v_add_co_u32 v1, vcc_lo, v5, v1
	v_add_co_ci_u32_e64 v2, null, v6, v2, vcc_lo
	global_load_dwordx2 v[1:2], v[1:2], off glc dlc
	s_waitcnt vmcnt(0)
	global_atomic_cmpswap_x2 v[6:7], v0, v[1:4], s[2:3] offset:24 glc
	s_waitcnt vmcnt(0)
	buffer_gl1_inv
	buffer_gl0_inv
	v_cmpx_ne_u64_e64 v[6:7], v[3:4]
	s_cbranch_execz .LBB3_413
; %bb.410:
	s_mov_b32 s8, 0
	.p2align	6
.LBB3_411:                              ; =>This Inner Loop Header: Depth=1
	s_sleep 1
	s_clause 0x1
	global_load_dwordx2 v[1:2], v0, s[2:3] offset:40
	global_load_dwordx2 v[8:9], v0, s[2:3]
	v_mov_b32_e32 v3, v6
	v_mov_b32_e32 v4, v7
	s_waitcnt vmcnt(1)
	v_and_b32_e32 v1, v1, v3
	v_and_b32_e32 v2, v2, v4
	s_waitcnt vmcnt(0)
	v_mad_u64_u32 v[5:6], null, v1, 24, v[8:9]
	v_mov_b32_e32 v1, v6
	v_mad_u64_u32 v[1:2], null, v2, 24, v[1:2]
	v_mov_b32_e32 v6, v1
	global_load_dwordx2 v[1:2], v[5:6], off glc dlc
	s_waitcnt vmcnt(0)
	global_atomic_cmpswap_x2 v[6:7], v0, v[1:4], s[2:3] offset:24 glc
	s_waitcnt vmcnt(0)
	buffer_gl1_inv
	buffer_gl0_inv
	v_cmp_eq_u64_e32 vcc_lo, v[6:7], v[3:4]
	s_or_b32 s8, vcc_lo, s8
	s_andn2_b32 exec_lo, exec_lo, s8
	s_cbranch_execnz .LBB3_411
; %bb.412:
	s_or_b32 exec_lo, exec_lo, s8
.LBB3_413:
	s_or_b32 exec_lo, exec_lo, s7
.LBB3_414:
	s_or_b32 exec_lo, exec_lo, s6
	v_mov_b32_e32 v5, 0
	v_readfirstlane_b32 s7, v7
	v_readfirstlane_b32 s6, v6
	s_mov_b32 s10, exec_lo
	s_waitcnt lgkmcnt(0)
	s_clause 0x1
	global_load_dwordx2 v[8:9], v5, s[2:3] offset:40
	global_load_dwordx4 v[0:3], v5, s[2:3]
	s_waitcnt vmcnt(1)
	v_readfirstlane_b32 s8, v8
	v_readfirstlane_b32 s9, v9
	s_and_b64 s[8:9], s[8:9], s[6:7]
	s_mul_i32 s11, s9, 24
	s_mul_hi_u32 s12, s8, 24
	s_mul_i32 s13, s8, 24
	s_add_i32 s12, s12, s11
	s_waitcnt vmcnt(0)
	v_add_co_u32 v8, vcc_lo, v0, s13
	v_add_co_ci_u32_e64 v9, null, s12, v1, vcc_lo
	s_and_saveexec_b32 s11, s1
	s_cbranch_execz .LBB3_416
; %bb.415:
	v_mov_b32_e32 v4, s10
	v_mov_b32_e32 v6, 2
	;; [unrolled: 1-line block ×3, first 2 shown]
	global_store_dwordx4 v[8:9], v[4:7], off offset:8
.LBB3_416:
	s_or_b32 exec_lo, exec_lo, s11
	s_lshl_b64 s[8:9], s[8:9], 12
	v_lshlrev_b32_e32 v30, 6, v31
	v_add_co_u32 v2, vcc_lo, v2, s8
	v_add_co_ci_u32_e64 v3, null, s9, v3, vcc_lo
	s_mov_b32 s8, 0
	v_add_co_u32 v10, vcc_lo, v2, v30
	s_mov_b32 s11, s8
	s_mov_b32 s9, s8
	;; [unrolled: 1-line block ×3, first 2 shown]
	v_mov_b32_e32 v4, 33
	v_mov_b32_e32 v6, v5
	;; [unrolled: 1-line block ×3, first 2 shown]
	v_readfirstlane_b32 s12, v2
	v_readfirstlane_b32 s13, v3
	v_mov_b32_e32 v15, s11
	v_add_co_ci_u32_e64 v11, null, 0, v3, vcc_lo
	v_mov_b32_e32 v14, s10
	v_mov_b32_e32 v13, s9
	;; [unrolled: 1-line block ×3, first 2 shown]
	global_store_dwordx4 v30, v[4:7], s[12:13]
	global_store_dwordx4 v30, v[12:15], s[12:13] offset:16
	global_store_dwordx4 v30, v[12:15], s[12:13] offset:32
	;; [unrolled: 1-line block ×3, first 2 shown]
	s_and_saveexec_b32 s8, s1
	s_cbranch_execz .LBB3_424
; %bb.417:
	v_mov_b32_e32 v6, 0
	v_mov_b32_e32 v12, s6
	;; [unrolled: 1-line block ×3, first 2 shown]
	s_mov_b32 s9, exec_lo
	s_clause 0x1
	global_load_dwordx2 v[14:15], v6, s[2:3] offset:32 glc dlc
	global_load_dwordx2 v[2:3], v6, s[2:3] offset:40
	s_waitcnt vmcnt(0)
	v_and_b32_e32 v3, s7, v3
	v_and_b32_e32 v2, s6, v2
	v_mul_lo_u32 v3, v3, 24
	v_mul_hi_u32 v4, v2, 24
	v_mul_lo_u32 v2, v2, 24
	v_add_nc_u32_e32 v3, v4, v3
	v_add_co_u32 v4, vcc_lo, v0, v2
	v_add_co_ci_u32_e64 v5, null, v1, v3, vcc_lo
	global_store_dwordx2 v[4:5], v[14:15], off
	s_waitcnt_vscnt null, 0x0
	global_atomic_cmpswap_x2 v[2:3], v6, v[12:15], s[2:3] offset:32 glc
	s_waitcnt vmcnt(0)
	v_cmpx_ne_u64_e64 v[2:3], v[14:15]
	s_cbranch_execz .LBB3_420
; %bb.418:
	s_mov_b32 s10, 0
.LBB3_419:                              ; =>This Inner Loop Header: Depth=1
	v_mov_b32_e32 v0, s6
	v_mov_b32_e32 v1, s7
	s_sleep 1
	global_store_dwordx2 v[4:5], v[2:3], off
	s_waitcnt_vscnt null, 0x0
	global_atomic_cmpswap_x2 v[0:1], v6, v[0:3], s[2:3] offset:32 glc
	s_waitcnt vmcnt(0)
	v_cmp_eq_u64_e32 vcc_lo, v[0:1], v[2:3]
	v_mov_b32_e32 v3, v1
	v_mov_b32_e32 v2, v0
	s_or_b32 s10, vcc_lo, s10
	s_andn2_b32 exec_lo, exec_lo, s10
	s_cbranch_execnz .LBB3_419
.LBB3_420:
	s_or_b32 exec_lo, exec_lo, s9
	v_mov_b32_e32 v3, 0
	s_mov_b32 s10, exec_lo
	s_mov_b32 s9, exec_lo
	v_mbcnt_lo_u32_b32 v2, s10, 0
	global_load_dwordx2 v[0:1], v3, s[2:3] offset:16
	v_cmpx_eq_u32_e32 0, v2
	s_cbranch_execz .LBB3_422
; %bb.421:
	s_bcnt1_i32_b32 s10, s10
	v_mov_b32_e32 v2, s10
	s_waitcnt vmcnt(0)
	global_atomic_add_x2 v[0:1], v[2:3], off offset:8
.LBB3_422:
	s_or_b32 exec_lo, exec_lo, s9
	s_waitcnt vmcnt(0)
	global_load_dwordx2 v[2:3], v[0:1], off offset:16
	s_waitcnt vmcnt(0)
	v_cmp_eq_u64_e32 vcc_lo, 0, v[2:3]
	s_cbranch_vccnz .LBB3_424
; %bb.423:
	global_load_dword v0, v[0:1], off offset:24
	v_mov_b32_e32 v1, 0
	s_waitcnt vmcnt(0)
	v_readfirstlane_b32 s9, v0
	s_waitcnt_vscnt null, 0x0
	global_store_dwordx2 v[2:3], v[0:1], off
	s_and_b32 m0, s9, 0x7fffff
	s_sendmsg sendmsg(MSG_INTERRUPT)
.LBB3_424:
	s_or_b32 exec_lo, exec_lo, s8
	s_branch .LBB3_428
	.p2align	6
.LBB3_425:                              ;   in Loop: Header=BB3_428 Depth=1
	s_or_b32 exec_lo, exec_lo, s8
	v_readfirstlane_b32 s8, v0
	s_cmp_eq_u32 s8, 0
	s_cbranch_scc1 .LBB3_427
; %bb.426:                              ;   in Loop: Header=BB3_428 Depth=1
	s_sleep 1
	s_cbranch_execnz .LBB3_428
	s_branch .LBB3_430
	.p2align	6
.LBB3_427:
	s_branch .LBB3_430
.LBB3_428:                              ; =>This Inner Loop Header: Depth=1
	v_mov_b32_e32 v0, 1
	s_and_saveexec_b32 s8, s1
	s_cbranch_execz .LBB3_425
; %bb.429:                              ;   in Loop: Header=BB3_428 Depth=1
	global_load_dword v0, v[8:9], off offset:20 glc dlc
	s_waitcnt vmcnt(0)
	buffer_gl1_inv
	buffer_gl0_inv
	v_and_b32_e32 v0, 1, v0
	s_branch .LBB3_425
.LBB3_430:
	global_load_dwordx2 v[0:1], v[10:11], off
	s_and_saveexec_b32 s8, s1
	s_cbranch_execz .LBB3_434
; %bb.431:
	v_mov_b32_e32 v8, 0
	s_clause 0x2
	global_load_dwordx2 v[2:3], v8, s[2:3] offset:40
	global_load_dwordx2 v[11:12], v8, s[2:3] offset:24 glc dlc
	global_load_dwordx2 v[4:5], v8, s[2:3]
	s_waitcnt vmcnt(2)
	v_readfirstlane_b32 s10, v2
	v_readfirstlane_b32 s11, v3
	s_add_u32 s1, s10, 1
	s_addc_u32 s9, s11, 0
	s_add_u32 s6, s1, s6
	s_addc_u32 s7, s9, s7
	s_cmp_eq_u64 s[6:7], 0
	s_cselect_b32 s7, s9, s7
	s_cselect_b32 s6, s1, s6
	v_mov_b32_e32 v10, s7
	s_and_b64 s[10:11], s[6:7], s[10:11]
	v_mov_b32_e32 v9, s6
	s_mul_i32 s1, s11, 24
	s_mul_hi_u32 s9, s10, 24
	s_mul_i32 s10, s10, 24
	s_add_i32 s9, s9, s1
	s_waitcnt vmcnt(0)
	v_add_co_u32 v6, vcc_lo, v4, s10
	v_add_co_ci_u32_e64 v7, null, s9, v5, vcc_lo
	global_store_dwordx2 v[6:7], v[11:12], off
	s_waitcnt_vscnt null, 0x0
	global_atomic_cmpswap_x2 v[4:5], v8, v[9:12], s[2:3] offset:24 glc
	s_waitcnt vmcnt(0)
	v_cmp_ne_u64_e32 vcc_lo, v[4:5], v[11:12]
	s_and_b32 exec_lo, exec_lo, vcc_lo
	s_cbranch_execz .LBB3_434
; %bb.432:
	s_mov_b32 s1, 0
.LBB3_433:                              ; =>This Inner Loop Header: Depth=1
	v_mov_b32_e32 v2, s6
	v_mov_b32_e32 v3, s7
	s_sleep 1
	global_store_dwordx2 v[6:7], v[4:5], off
	s_waitcnt_vscnt null, 0x0
	global_atomic_cmpswap_x2 v[2:3], v8, v[2:5], s[2:3] offset:24 glc
	s_waitcnt vmcnt(0)
	v_cmp_eq_u64_e32 vcc_lo, v[2:3], v[4:5]
	v_mov_b32_e32 v5, v3
	v_mov_b32_e32 v4, v2
	s_or_b32 s1, vcc_lo, s1
	s_andn2_b32 exec_lo, exec_lo, s1
	s_cbranch_execnz .LBB3_433
.LBB3_434:
	s_or_b32 exec_lo, exec_lo, s8
	s_getpc_b64 s[6:7]
	s_add_u32 s6, s6, .str.9@rel32@lo+4
	s_addc_u32 s7, s7, .str.9@rel32@hi+12
	s_cmp_lg_u64 s[6:7], 0
	s_cselect_b32 s1, -1, 0
	s_cmp_eq_u64 s[6:7], 0
	s_mov_b64 s[6:7], 0
	s_cbranch_scc1 .LBB3_438
; %bb.435:
	v_mov_b32_e32 v2, 0
	s_getpc_b64 s[6:7]
	s_add_u32 s6, s6, .str.9@rel32@lo+3
	s_addc_u32 s7, s7, .str.9@rel32@hi+11
.LBB3_436:                              ; =>This Inner Loop Header: Depth=1
	global_load_ubyte v3, v2, s[6:7] offset:1
	s_add_u32 s8, s6, 1
	s_addc_u32 s9, s7, 0
	s_mov_b64 s[6:7], s[8:9]
	s_waitcnt vmcnt(0)
	v_cmp_ne_u32_e32 vcc_lo, 0, v3
	s_cbranch_vccnz .LBB3_436
; %bb.437:
	s_getpc_b64 s[6:7]
	s_add_u32 s6, s6, .str.9@rel32@lo+4
	s_addc_u32 s7, s7, .str.9@rel32@hi+12
	s_sub_u32 s6, s8, s6
	s_subb_u32 s7, s9, s7
	s_add_u32 s6, s6, 1
	s_addc_u32 s7, s7, 0
.LBB3_438:
	s_and_b32 vcc_lo, exec_lo, s1
	s_cbranch_vccz .LBB3_517
; %bb.439:
	s_waitcnt vmcnt(0)
	v_and_b32_e32 v32, 2, v0
	v_mov_b32_e32 v7, 0
	v_and_b32_e32 v2, -3, v0
	v_mov_b32_e32 v3, v1
	v_mov_b32_e32 v8, 2
	;; [unrolled: 1-line block ×3, first 2 shown]
	s_getpc_b64 s[8:9]
	s_add_u32 s8, s8, .str.9@rel32@lo+4
	s_addc_u32 s9, s9, .str.9@rel32@hi+12
	s_branch .LBB3_441
.LBB3_440:                              ;   in Loop: Header=BB3_441 Depth=1
	s_or_b32 exec_lo, exec_lo, s14
	s_sub_u32 s6, s6, s10
	s_subb_u32 s7, s7, s11
	s_add_u32 s8, s8, s10
	s_addc_u32 s9, s9, s11
	s_cmp_lg_u64 s[6:7], 0
	s_cbranch_scc0 .LBB3_516
.LBB3_441:                              ; =>This Loop Header: Depth=1
                                        ;     Child Loop BB3_444 Depth 2
                                        ;     Child Loop BB3_451 Depth 2
	;; [unrolled: 1-line block ×11, first 2 shown]
	v_cmp_lt_u64_e64 s1, s[6:7], 56
	v_cmp_gt_u64_e64 s14, s[6:7], 7
	s_and_b32 s1, s1, exec_lo
	s_cselect_b32 s11, s7, 0
	s_cselect_b32 s10, s6, 56
	s_add_u32 s12, s8, 8
	s_addc_u32 s13, s9, 0
	s_and_b32 vcc_lo, exec_lo, s14
	s_cbranch_vccnz .LBB3_446
; %bb.442:                              ;   in Loop: Header=BB3_441 Depth=1
	v_mov_b32_e32 v4, 0
	v_mov_b32_e32 v5, 0
	s_cmp_eq_u64 s[6:7], 0
	s_cbranch_scc1 .LBB3_445
; %bb.443:                              ;   in Loop: Header=BB3_441 Depth=1
	s_lshl_b64 s[12:13], s[10:11], 3
	s_mov_b64 s[14:15], 0
	s_mov_b64 s[16:17], s[8:9]
.LBB3_444:                              ;   Parent Loop BB3_441 Depth=1
                                        ; =>  This Inner Loop Header: Depth=2
	global_load_ubyte v6, v7, s[16:17]
	s_waitcnt vmcnt(0)
	v_and_b32_e32 v6, 0xffff, v6
	v_lshlrev_b64 v[10:11], s14, v[6:7]
	s_add_u32 s14, s14, 8
	s_addc_u32 s15, s15, 0
	s_add_u32 s16, s16, 1
	s_addc_u32 s17, s17, 0
	s_cmp_lg_u32 s12, s14
	v_or_b32_e32 v4, v10, v4
	v_or_b32_e32 v5, v11, v5
	s_cbranch_scc1 .LBB3_444
.LBB3_445:                              ;   in Loop: Header=BB3_441 Depth=1
	s_mov_b64 s[12:13], s[8:9]
	s_mov_b32 s1, 0
	s_cbranch_execz .LBB3_447
	s_branch .LBB3_448
.LBB3_446:                              ;   in Loop: Header=BB3_441 Depth=1
	s_mov_b32 s1, 0
.LBB3_447:                              ;   in Loop: Header=BB3_441 Depth=1
	global_load_dwordx2 v[4:5], v7, s[8:9]
	s_add_i32 s1, s10, -8
.LBB3_448:                              ;   in Loop: Header=BB3_441 Depth=1
	s_add_u32 s14, s12, 8
	s_addc_u32 s15, s13, 0
	s_cmp_gt_u32 s1, 7
	s_cbranch_scc1 .LBB3_453
; %bb.449:                              ;   in Loop: Header=BB3_441 Depth=1
	v_mov_b32_e32 v10, 0
	v_mov_b32_e32 v11, 0
	s_cmp_eq_u32 s1, 0
	s_cbranch_scc1 .LBB3_452
; %bb.450:                              ;   in Loop: Header=BB3_441 Depth=1
	s_mov_b64 s[14:15], 0
	s_mov_b64 s[16:17], 0
.LBB3_451:                              ;   Parent Loop BB3_441 Depth=1
                                        ; =>  This Inner Loop Header: Depth=2
	s_add_u32 s18, s12, s16
	s_addc_u32 s19, s13, s17
	s_add_u32 s16, s16, 1
	global_load_ubyte v6, v7, s[18:19]
	s_addc_u32 s17, s17, 0
	s_waitcnt vmcnt(0)
	v_and_b32_e32 v6, 0xffff, v6
	v_lshlrev_b64 v[12:13], s14, v[6:7]
	s_add_u32 s14, s14, 8
	s_addc_u32 s15, s15, 0
	s_cmp_lg_u32 s1, s16
	v_or_b32_e32 v10, v12, v10
	v_or_b32_e32 v11, v13, v11
	s_cbranch_scc1 .LBB3_451
.LBB3_452:                              ;   in Loop: Header=BB3_441 Depth=1
	s_mov_b64 s[14:15], s[12:13]
	s_mov_b32 s18, 0
	s_cbranch_execz .LBB3_454
	s_branch .LBB3_455
.LBB3_453:                              ;   in Loop: Header=BB3_441 Depth=1
                                        ; implicit-def: $vgpr10_vgpr11
	s_mov_b32 s18, 0
.LBB3_454:                              ;   in Loop: Header=BB3_441 Depth=1
	global_load_dwordx2 v[10:11], v7, s[12:13]
	s_add_i32 s18, s1, -8
.LBB3_455:                              ;   in Loop: Header=BB3_441 Depth=1
	s_add_u32 s12, s14, 8
	s_addc_u32 s13, s15, 0
	s_cmp_gt_u32 s18, 7
	s_cbranch_scc1 .LBB3_460
; %bb.456:                              ;   in Loop: Header=BB3_441 Depth=1
	v_mov_b32_e32 v12, 0
	v_mov_b32_e32 v13, 0
	s_cmp_eq_u32 s18, 0
	s_cbranch_scc1 .LBB3_459
; %bb.457:                              ;   in Loop: Header=BB3_441 Depth=1
	s_mov_b64 s[12:13], 0
	s_mov_b64 s[16:17], 0
.LBB3_458:                              ;   Parent Loop BB3_441 Depth=1
                                        ; =>  This Inner Loop Header: Depth=2
	s_add_u32 s22, s14, s16
	s_addc_u32 s23, s15, s17
	s_add_u32 s16, s16, 1
	global_load_ubyte v6, v7, s[22:23]
	s_addc_u32 s17, s17, 0
	s_waitcnt vmcnt(0)
	v_and_b32_e32 v6, 0xffff, v6
	v_lshlrev_b64 v[14:15], s12, v[6:7]
	s_add_u32 s12, s12, 8
	s_addc_u32 s13, s13, 0
	s_cmp_lg_u32 s18, s16
	v_or_b32_e32 v12, v14, v12
	v_or_b32_e32 v13, v15, v13
	s_cbranch_scc1 .LBB3_458
.LBB3_459:                              ;   in Loop: Header=BB3_441 Depth=1
	s_mov_b64 s[12:13], s[14:15]
	s_mov_b32 s1, 0
	s_cbranch_execz .LBB3_461
	s_branch .LBB3_462
.LBB3_460:                              ;   in Loop: Header=BB3_441 Depth=1
	s_mov_b32 s1, 0
.LBB3_461:                              ;   in Loop: Header=BB3_441 Depth=1
	global_load_dwordx2 v[12:13], v7, s[14:15]
	s_add_i32 s1, s18, -8
.LBB3_462:                              ;   in Loop: Header=BB3_441 Depth=1
	s_add_u32 s14, s12, 8
	s_addc_u32 s15, s13, 0
	s_cmp_gt_u32 s1, 7
	s_cbranch_scc1 .LBB3_467
; %bb.463:                              ;   in Loop: Header=BB3_441 Depth=1
	v_mov_b32_e32 v14, 0
	v_mov_b32_e32 v15, 0
	s_cmp_eq_u32 s1, 0
	s_cbranch_scc1 .LBB3_466
; %bb.464:                              ;   in Loop: Header=BB3_441 Depth=1
	s_mov_b64 s[14:15], 0
	s_mov_b64 s[16:17], 0
.LBB3_465:                              ;   Parent Loop BB3_441 Depth=1
                                        ; =>  This Inner Loop Header: Depth=2
	s_add_u32 s18, s12, s16
	s_addc_u32 s19, s13, s17
	s_add_u32 s16, s16, 1
	global_load_ubyte v6, v7, s[18:19]
	s_addc_u32 s17, s17, 0
	s_waitcnt vmcnt(0)
	v_and_b32_e32 v6, 0xffff, v6
	v_lshlrev_b64 v[16:17], s14, v[6:7]
	s_add_u32 s14, s14, 8
	s_addc_u32 s15, s15, 0
	s_cmp_lg_u32 s1, s16
	v_or_b32_e32 v14, v16, v14
	v_or_b32_e32 v15, v17, v15
	s_cbranch_scc1 .LBB3_465
.LBB3_466:                              ;   in Loop: Header=BB3_441 Depth=1
	s_mov_b64 s[14:15], s[12:13]
	s_mov_b32 s18, 0
	s_cbranch_execz .LBB3_468
	s_branch .LBB3_469
.LBB3_467:                              ;   in Loop: Header=BB3_441 Depth=1
                                        ; implicit-def: $vgpr14_vgpr15
	s_mov_b32 s18, 0
.LBB3_468:                              ;   in Loop: Header=BB3_441 Depth=1
	global_load_dwordx2 v[14:15], v7, s[12:13]
	s_add_i32 s18, s1, -8
.LBB3_469:                              ;   in Loop: Header=BB3_441 Depth=1
	s_add_u32 s12, s14, 8
	s_addc_u32 s13, s15, 0
	s_cmp_gt_u32 s18, 7
	s_cbranch_scc1 .LBB3_474
; %bb.470:                              ;   in Loop: Header=BB3_441 Depth=1
	v_mov_b32_e32 v16, 0
	v_mov_b32_e32 v17, 0
	s_cmp_eq_u32 s18, 0
	s_cbranch_scc1 .LBB3_473
; %bb.471:                              ;   in Loop: Header=BB3_441 Depth=1
	s_mov_b64 s[12:13], 0
	s_mov_b64 s[16:17], 0
.LBB3_472:                              ;   Parent Loop BB3_441 Depth=1
                                        ; =>  This Inner Loop Header: Depth=2
	s_add_u32 s22, s14, s16
	s_addc_u32 s23, s15, s17
	s_add_u32 s16, s16, 1
	global_load_ubyte v6, v7, s[22:23]
	s_addc_u32 s17, s17, 0
	s_waitcnt vmcnt(0)
	v_and_b32_e32 v6, 0xffff, v6
	v_lshlrev_b64 v[18:19], s12, v[6:7]
	s_add_u32 s12, s12, 8
	s_addc_u32 s13, s13, 0
	s_cmp_lg_u32 s18, s16
	v_or_b32_e32 v16, v18, v16
	v_or_b32_e32 v17, v19, v17
	s_cbranch_scc1 .LBB3_472
.LBB3_473:                              ;   in Loop: Header=BB3_441 Depth=1
	s_mov_b64 s[12:13], s[14:15]
	s_mov_b32 s1, 0
	s_cbranch_execz .LBB3_475
	s_branch .LBB3_476
.LBB3_474:                              ;   in Loop: Header=BB3_441 Depth=1
	s_mov_b32 s1, 0
.LBB3_475:                              ;   in Loop: Header=BB3_441 Depth=1
	global_load_dwordx2 v[16:17], v7, s[14:15]
	s_add_i32 s1, s18, -8
.LBB3_476:                              ;   in Loop: Header=BB3_441 Depth=1
	s_add_u32 s14, s12, 8
	s_addc_u32 s15, s13, 0
	s_cmp_gt_u32 s1, 7
	s_cbranch_scc1 .LBB3_481
; %bb.477:                              ;   in Loop: Header=BB3_441 Depth=1
	v_mov_b32_e32 v18, 0
	v_mov_b32_e32 v19, 0
	s_cmp_eq_u32 s1, 0
	s_cbranch_scc1 .LBB3_480
; %bb.478:                              ;   in Loop: Header=BB3_441 Depth=1
	s_mov_b64 s[14:15], 0
	s_mov_b64 s[16:17], 0
.LBB3_479:                              ;   Parent Loop BB3_441 Depth=1
                                        ; =>  This Inner Loop Header: Depth=2
	s_add_u32 s18, s12, s16
	s_addc_u32 s19, s13, s17
	s_add_u32 s16, s16, 1
	global_load_ubyte v6, v7, s[18:19]
	s_addc_u32 s17, s17, 0
	s_waitcnt vmcnt(0)
	v_and_b32_e32 v6, 0xffff, v6
	v_lshlrev_b64 v[20:21], s14, v[6:7]
	s_add_u32 s14, s14, 8
	s_addc_u32 s15, s15, 0
	s_cmp_lg_u32 s1, s16
	v_or_b32_e32 v18, v20, v18
	v_or_b32_e32 v19, v21, v19
	s_cbranch_scc1 .LBB3_479
.LBB3_480:                              ;   in Loop: Header=BB3_441 Depth=1
	s_mov_b64 s[14:15], s[12:13]
	s_mov_b32 s18, 0
	s_cbranch_execz .LBB3_482
	s_branch .LBB3_483
.LBB3_481:                              ;   in Loop: Header=BB3_441 Depth=1
                                        ; implicit-def: $vgpr18_vgpr19
	s_mov_b32 s18, 0
.LBB3_482:                              ;   in Loop: Header=BB3_441 Depth=1
	global_load_dwordx2 v[18:19], v7, s[12:13]
	s_add_i32 s18, s1, -8
.LBB3_483:                              ;   in Loop: Header=BB3_441 Depth=1
	s_cmp_gt_u32 s18, 7
	s_cbranch_scc1 .LBB3_488
; %bb.484:                              ;   in Loop: Header=BB3_441 Depth=1
	v_mov_b32_e32 v20, 0
	v_mov_b32_e32 v21, 0
	s_cmp_eq_u32 s18, 0
	s_cbranch_scc1 .LBB3_487
; %bb.485:                              ;   in Loop: Header=BB3_441 Depth=1
	s_mov_b64 s[12:13], 0
	s_mov_b64 s[16:17], s[14:15]
.LBB3_486:                              ;   Parent Loop BB3_441 Depth=1
                                        ; =>  This Inner Loop Header: Depth=2
	global_load_ubyte v6, v7, s[16:17]
	s_add_i32 s18, s18, -1
	s_waitcnt vmcnt(0)
	v_and_b32_e32 v6, 0xffff, v6
	v_lshlrev_b64 v[22:23], s12, v[6:7]
	s_add_u32 s12, s12, 8
	s_addc_u32 s13, s13, 0
	s_add_u32 s16, s16, 1
	s_addc_u32 s17, s17, 0
	s_cmp_lg_u32 s18, 0
	v_or_b32_e32 v20, v22, v20
	v_or_b32_e32 v21, v23, v21
	s_cbranch_scc1 .LBB3_486
.LBB3_487:                              ;   in Loop: Header=BB3_441 Depth=1
	s_cbranch_execz .LBB3_489
	s_branch .LBB3_490
.LBB3_488:                              ;   in Loop: Header=BB3_441 Depth=1
.LBB3_489:                              ;   in Loop: Header=BB3_441 Depth=1
	global_load_dwordx2 v[20:21], v7, s[14:15]
.LBB3_490:                              ;   in Loop: Header=BB3_441 Depth=1
	v_readfirstlane_b32 s1, v31
	v_mov_b32_e32 v27, 0
	v_mov_b32_e32 v28, 0
	v_cmp_eq_u32_e64 s1, s1, v31
	s_and_saveexec_b32 s12, s1
	s_cbranch_execz .LBB3_496
; %bb.491:                              ;   in Loop: Header=BB3_441 Depth=1
	global_load_dwordx2 v[24:25], v7, s[2:3] offset:24 glc dlc
	s_waitcnt vmcnt(0)
	buffer_gl1_inv
	buffer_gl0_inv
	s_clause 0x1
	global_load_dwordx2 v[22:23], v7, s[2:3] offset:40
	global_load_dwordx2 v[27:28], v7, s[2:3]
	s_mov_b32 s13, exec_lo
	s_waitcnt vmcnt(1)
	v_and_b32_e32 v6, v23, v25
	v_and_b32_e32 v22, v22, v24
	v_mul_lo_u32 v6, v6, 24
	v_mul_hi_u32 v23, v22, 24
	v_mul_lo_u32 v22, v22, 24
	v_add_nc_u32_e32 v6, v23, v6
	s_waitcnt vmcnt(0)
	v_add_co_u32 v22, vcc_lo, v27, v22
	v_add_co_ci_u32_e64 v23, null, v28, v6, vcc_lo
	global_load_dwordx2 v[22:23], v[22:23], off glc dlc
	s_waitcnt vmcnt(0)
	global_atomic_cmpswap_x2 v[27:28], v7, v[22:25], s[2:3] offset:24 glc
	s_waitcnt vmcnt(0)
	buffer_gl1_inv
	buffer_gl0_inv
	v_cmpx_ne_u64_e64 v[27:28], v[24:25]
	s_cbranch_execz .LBB3_495
; %bb.492:                              ;   in Loop: Header=BB3_441 Depth=1
	s_mov_b32 s14, 0
	.p2align	6
.LBB3_493:                              ;   Parent Loop BB3_441 Depth=1
                                        ; =>  This Inner Loop Header: Depth=2
	s_sleep 1
	s_clause 0x1
	global_load_dwordx2 v[22:23], v7, s[2:3] offset:40
	global_load_dwordx2 v[33:34], v7, s[2:3]
	v_mov_b32_e32 v24, v27
	v_mov_b32_e32 v25, v28
	s_waitcnt vmcnt(1)
	v_and_b32_e32 v6, v22, v24
	v_and_b32_e32 v22, v23, v25
	s_waitcnt vmcnt(0)
	v_mad_u64_u32 v[27:28], null, v6, 24, v[33:34]
	v_mov_b32_e32 v6, v28
	v_mad_u64_u32 v[22:23], null, v22, 24, v[6:7]
	v_mov_b32_e32 v28, v22
	global_load_dwordx2 v[22:23], v[27:28], off glc dlc
	s_waitcnt vmcnt(0)
	global_atomic_cmpswap_x2 v[27:28], v7, v[22:25], s[2:3] offset:24 glc
	s_waitcnt vmcnt(0)
	buffer_gl1_inv
	buffer_gl0_inv
	v_cmp_eq_u64_e32 vcc_lo, v[27:28], v[24:25]
	s_or_b32 s14, vcc_lo, s14
	s_andn2_b32 exec_lo, exec_lo, s14
	s_cbranch_execnz .LBB3_493
; %bb.494:                              ;   in Loop: Header=BB3_441 Depth=1
	s_or_b32 exec_lo, exec_lo, s14
.LBB3_495:                              ;   in Loop: Header=BB3_441 Depth=1
	s_or_b32 exec_lo, exec_lo, s13
.LBB3_496:                              ;   in Loop: Header=BB3_441 Depth=1
	s_or_b32 exec_lo, exec_lo, s12
	s_clause 0x1
	global_load_dwordx2 v[33:34], v7, s[2:3] offset:40
	global_load_dwordx4 v[22:25], v7, s[2:3]
	v_readfirstlane_b32 s13, v28
	v_readfirstlane_b32 s12, v27
	s_mov_b32 s16, exec_lo
	s_waitcnt vmcnt(1)
	v_readfirstlane_b32 s14, v33
	v_readfirstlane_b32 s15, v34
	s_and_b64 s[14:15], s[14:15], s[12:13]
	s_mul_i32 s17, s15, 24
	s_mul_hi_u32 s18, s14, 24
	s_mul_i32 s19, s14, 24
	s_add_i32 s18, s18, s17
	s_waitcnt vmcnt(0)
	v_add_co_u32 v27, vcc_lo, v22, s19
	v_add_co_ci_u32_e64 v28, null, s18, v23, vcc_lo
	s_and_saveexec_b32 s17, s1
	s_cbranch_execz .LBB3_498
; %bb.497:                              ;   in Loop: Header=BB3_441 Depth=1
	v_mov_b32_e32 v6, s16
	global_store_dwordx4 v[27:28], v[6:9], off offset:8
.LBB3_498:                              ;   in Loop: Header=BB3_441 Depth=1
	s_or_b32 exec_lo, exec_lo, s17
	v_cmp_lt_u64_e64 vcc_lo, s[6:7], 57
	s_lshl_b64 s[14:15], s[14:15], 12
	v_and_b32_e32 v2, 0xffffff1f, v2
	v_cndmask_b32_e32 v6, 0, v32, vcc_lo
	v_add_co_u32 v24, vcc_lo, v24, s14
	v_add_co_ci_u32_e64 v25, null, s15, v25, vcc_lo
	v_or_b32_e32 v2, v2, v6
	s_lshl_b32 s14, s10, 2
	s_add_i32 s16, s14, 28
	v_readfirstlane_b32 s14, v24
	v_readfirstlane_b32 s15, v25
	v_and_or_b32 v2, 0x1e0, s16, v2
	global_store_dwordx4 v30, v[10:13], s[14:15] offset:16
	global_store_dwordx4 v30, v[2:5], s[14:15]
	global_store_dwordx4 v30, v[14:17], s[14:15] offset:32
	global_store_dwordx4 v30, v[18:21], s[14:15] offset:48
	s_and_saveexec_b32 s14, s1
	s_cbranch_execz .LBB3_506
; %bb.499:                              ;   in Loop: Header=BB3_441 Depth=1
	s_clause 0x1
	global_load_dwordx2 v[14:15], v7, s[2:3] offset:32 glc dlc
	global_load_dwordx2 v[2:3], v7, s[2:3] offset:40
	v_mov_b32_e32 v12, s12
	v_mov_b32_e32 v13, s13
	s_waitcnt vmcnt(0)
	v_readfirstlane_b32 s16, v2
	v_readfirstlane_b32 s17, v3
	s_and_b64 s[16:17], s[16:17], s[12:13]
	s_mul_i32 s15, s17, 24
	s_mul_hi_u32 s17, s16, 24
	s_mul_i32 s16, s16, 24
	s_add_i32 s17, s17, s15
	v_add_co_u32 v10, vcc_lo, v22, s16
	v_add_co_ci_u32_e64 v11, null, s17, v23, vcc_lo
	s_mov_b32 s15, exec_lo
	global_store_dwordx2 v[10:11], v[14:15], off
	s_waitcnt_vscnt null, 0x0
	global_atomic_cmpswap_x2 v[4:5], v7, v[12:15], s[2:3] offset:32 glc
	s_waitcnt vmcnt(0)
	v_cmpx_ne_u64_e64 v[4:5], v[14:15]
	s_cbranch_execz .LBB3_502
; %bb.500:                              ;   in Loop: Header=BB3_441 Depth=1
	s_mov_b32 s16, 0
.LBB3_501:                              ;   Parent Loop BB3_441 Depth=1
                                        ; =>  This Inner Loop Header: Depth=2
	v_mov_b32_e32 v2, s12
	v_mov_b32_e32 v3, s13
	s_sleep 1
	global_store_dwordx2 v[10:11], v[4:5], off
	s_waitcnt_vscnt null, 0x0
	global_atomic_cmpswap_x2 v[2:3], v7, v[2:5], s[2:3] offset:32 glc
	s_waitcnt vmcnt(0)
	v_cmp_eq_u64_e32 vcc_lo, v[2:3], v[4:5]
	v_mov_b32_e32 v5, v3
	v_mov_b32_e32 v4, v2
	s_or_b32 s16, vcc_lo, s16
	s_andn2_b32 exec_lo, exec_lo, s16
	s_cbranch_execnz .LBB3_501
.LBB3_502:                              ;   in Loop: Header=BB3_441 Depth=1
	s_or_b32 exec_lo, exec_lo, s15
	global_load_dwordx2 v[2:3], v7, s[2:3] offset:16
	s_mov_b32 s16, exec_lo
	s_mov_b32 s15, exec_lo
	v_mbcnt_lo_u32_b32 v4, s16, 0
	v_cmpx_eq_u32_e32 0, v4
	s_cbranch_execz .LBB3_504
; %bb.503:                              ;   in Loop: Header=BB3_441 Depth=1
	s_bcnt1_i32_b32 s16, s16
	v_mov_b32_e32 v6, s16
	s_waitcnt vmcnt(0)
	global_atomic_add_x2 v[2:3], v[6:7], off offset:8
.LBB3_504:                              ;   in Loop: Header=BB3_441 Depth=1
	s_or_b32 exec_lo, exec_lo, s15
	s_waitcnt vmcnt(0)
	global_load_dwordx2 v[4:5], v[2:3], off offset:16
	s_waitcnt vmcnt(0)
	v_cmp_eq_u64_e32 vcc_lo, 0, v[4:5]
	s_cbranch_vccnz .LBB3_506
; %bb.505:                              ;   in Loop: Header=BB3_441 Depth=1
	global_load_dword v6, v[2:3], off offset:24
	s_waitcnt vmcnt(0)
	v_readfirstlane_b32 s15, v6
	s_waitcnt_vscnt null, 0x0
	global_store_dwordx2 v[4:5], v[6:7], off
	s_and_b32 m0, s15, 0x7fffff
	s_sendmsg sendmsg(MSG_INTERRUPT)
.LBB3_506:                              ;   in Loop: Header=BB3_441 Depth=1
	s_or_b32 exec_lo, exec_lo, s14
	v_add_co_u32 v2, vcc_lo, v24, v30
	v_add_co_ci_u32_e64 v3, null, 0, v25, vcc_lo
	s_branch .LBB3_510
	.p2align	6
.LBB3_507:                              ;   in Loop: Header=BB3_510 Depth=2
	s_or_b32 exec_lo, exec_lo, s14
	v_readfirstlane_b32 s14, v4
	s_cmp_eq_u32 s14, 0
	s_cbranch_scc1 .LBB3_509
; %bb.508:                              ;   in Loop: Header=BB3_510 Depth=2
	s_sleep 1
	s_cbranch_execnz .LBB3_510
	s_branch .LBB3_512
	.p2align	6
.LBB3_509:                              ;   in Loop: Header=BB3_441 Depth=1
	s_branch .LBB3_512
.LBB3_510:                              ;   Parent Loop BB3_441 Depth=1
                                        ; =>  This Inner Loop Header: Depth=2
	v_mov_b32_e32 v4, 1
	s_and_saveexec_b32 s14, s1
	s_cbranch_execz .LBB3_507
; %bb.511:                              ;   in Loop: Header=BB3_510 Depth=2
	global_load_dword v4, v[27:28], off offset:20 glc dlc
	s_waitcnt vmcnt(0)
	buffer_gl1_inv
	buffer_gl0_inv
	v_and_b32_e32 v4, 1, v4
	s_branch .LBB3_507
.LBB3_512:                              ;   in Loop: Header=BB3_441 Depth=1
	global_load_dwordx2 v[2:3], v[2:3], off
	s_and_saveexec_b32 s14, s1
	s_cbranch_execz .LBB3_440
; %bb.513:                              ;   in Loop: Header=BB3_441 Depth=1
	s_clause 0x2
	global_load_dwordx2 v[4:5], v7, s[2:3] offset:40
	global_load_dwordx2 v[14:15], v7, s[2:3] offset:24 glc dlc
	global_load_dwordx2 v[10:11], v7, s[2:3]
	s_waitcnt vmcnt(2)
	v_readfirstlane_b32 s16, v4
	v_readfirstlane_b32 s17, v5
	s_add_u32 s1, s16, 1
	s_addc_u32 s15, s17, 0
	s_add_u32 s12, s1, s12
	s_addc_u32 s13, s15, s13
	s_cmp_eq_u64 s[12:13], 0
	s_cselect_b32 s13, s15, s13
	s_cselect_b32 s12, s1, s12
	v_mov_b32_e32 v13, s13
	s_and_b64 s[16:17], s[12:13], s[16:17]
	v_mov_b32_e32 v12, s12
	s_mul_i32 s1, s17, 24
	s_mul_hi_u32 s15, s16, 24
	s_mul_i32 s16, s16, 24
	s_add_i32 s15, s15, s1
	s_waitcnt vmcnt(0)
	v_add_co_u32 v4, vcc_lo, v10, s16
	v_add_co_ci_u32_e64 v5, null, s15, v11, vcc_lo
	global_store_dwordx2 v[4:5], v[14:15], off
	s_waitcnt_vscnt null, 0x0
	global_atomic_cmpswap_x2 v[12:13], v7, v[12:15], s[2:3] offset:24 glc
	s_waitcnt vmcnt(0)
	v_cmp_ne_u64_e32 vcc_lo, v[12:13], v[14:15]
	s_and_b32 exec_lo, exec_lo, vcc_lo
	s_cbranch_execz .LBB3_440
; %bb.514:                              ;   in Loop: Header=BB3_441 Depth=1
	s_mov_b32 s1, 0
.LBB3_515:                              ;   Parent Loop BB3_441 Depth=1
                                        ; =>  This Inner Loop Header: Depth=2
	v_mov_b32_e32 v10, s12
	v_mov_b32_e32 v11, s13
	s_sleep 1
	global_store_dwordx2 v[4:5], v[12:13], off
	s_waitcnt_vscnt null, 0x0
	global_atomic_cmpswap_x2 v[10:11], v7, v[10:13], s[2:3] offset:24 glc
	s_waitcnt vmcnt(0)
	v_cmp_eq_u64_e32 vcc_lo, v[10:11], v[12:13]
	v_mov_b32_e32 v13, v11
	v_mov_b32_e32 v12, v10
	s_or_b32 s1, vcc_lo, s1
	s_andn2_b32 exec_lo, exec_lo, s1
	s_cbranch_execnz .LBB3_515
	s_branch .LBB3_440
.LBB3_516:
	s_branch .LBB3_545
.LBB3_517:
                                        ; implicit-def: $vgpr2_vgpr3
	s_cbranch_execz .LBB3_545
; %bb.518:
	v_readfirstlane_b32 s1, v31
	v_mov_b32_e32 v8, 0
	v_mov_b32_e32 v9, 0
	v_cmp_eq_u32_e64 s1, s1, v31
	s_and_saveexec_b32 s6, s1
	s_cbranch_execz .LBB3_524
; %bb.519:
	s_waitcnt vmcnt(0)
	v_mov_b32_e32 v2, 0
	s_mov_b32 s7, exec_lo
	global_load_dwordx2 v[5:6], v2, s[2:3] offset:24 glc dlc
	s_waitcnt vmcnt(0)
	buffer_gl1_inv
	buffer_gl0_inv
	s_clause 0x1
	global_load_dwordx2 v[3:4], v2, s[2:3] offset:40
	global_load_dwordx2 v[7:8], v2, s[2:3]
	s_waitcnt vmcnt(1)
	v_and_b32_e32 v4, v4, v6
	v_and_b32_e32 v3, v3, v5
	v_mul_lo_u32 v4, v4, 24
	v_mul_hi_u32 v9, v3, 24
	v_mul_lo_u32 v3, v3, 24
	v_add_nc_u32_e32 v4, v9, v4
	s_waitcnt vmcnt(0)
	v_add_co_u32 v3, vcc_lo, v7, v3
	v_add_co_ci_u32_e64 v4, null, v8, v4, vcc_lo
	global_load_dwordx2 v[3:4], v[3:4], off glc dlc
	s_waitcnt vmcnt(0)
	global_atomic_cmpswap_x2 v[8:9], v2, v[3:6], s[2:3] offset:24 glc
	s_waitcnt vmcnt(0)
	buffer_gl1_inv
	buffer_gl0_inv
	v_cmpx_ne_u64_e64 v[8:9], v[5:6]
	s_cbranch_execz .LBB3_523
; %bb.520:
	s_mov_b32 s8, 0
	.p2align	6
.LBB3_521:                              ; =>This Inner Loop Header: Depth=1
	s_sleep 1
	s_clause 0x1
	global_load_dwordx2 v[3:4], v2, s[2:3] offset:40
	global_load_dwordx2 v[10:11], v2, s[2:3]
	v_mov_b32_e32 v5, v8
	v_mov_b32_e32 v6, v9
	s_waitcnt vmcnt(1)
	v_and_b32_e32 v3, v3, v5
	v_and_b32_e32 v4, v4, v6
	s_waitcnt vmcnt(0)
	v_mad_u64_u32 v[7:8], null, v3, 24, v[10:11]
	v_mov_b32_e32 v3, v8
	v_mad_u64_u32 v[3:4], null, v4, 24, v[3:4]
	v_mov_b32_e32 v8, v3
	global_load_dwordx2 v[3:4], v[7:8], off glc dlc
	s_waitcnt vmcnt(0)
	global_atomic_cmpswap_x2 v[8:9], v2, v[3:6], s[2:3] offset:24 glc
	s_waitcnt vmcnt(0)
	buffer_gl1_inv
	buffer_gl0_inv
	v_cmp_eq_u64_e32 vcc_lo, v[8:9], v[5:6]
	s_or_b32 s8, vcc_lo, s8
	s_andn2_b32 exec_lo, exec_lo, s8
	s_cbranch_execnz .LBB3_521
; %bb.522:
	s_or_b32 exec_lo, exec_lo, s8
.LBB3_523:
	s_or_b32 exec_lo, exec_lo, s7
.LBB3_524:
	s_or_b32 exec_lo, exec_lo, s6
	s_waitcnt vmcnt(0)
	v_mov_b32_e32 v2, 0
	v_readfirstlane_b32 s7, v9
	v_readfirstlane_b32 s6, v8
	s_mov_b32 s10, exec_lo
	s_clause 0x1
	global_load_dwordx2 v[10:11], v2, s[2:3] offset:40
	global_load_dwordx4 v[4:7], v2, s[2:3]
	s_waitcnt vmcnt(1)
	v_readfirstlane_b32 s8, v10
	v_readfirstlane_b32 s9, v11
	s_and_b64 s[8:9], s[8:9], s[6:7]
	s_mul_i32 s11, s9, 24
	s_mul_hi_u32 s12, s8, 24
	s_mul_i32 s13, s8, 24
	s_add_i32 s12, s12, s11
	s_waitcnt vmcnt(0)
	v_add_co_u32 v8, vcc_lo, v4, s13
	v_add_co_ci_u32_e64 v9, null, s12, v5, vcc_lo
	s_and_saveexec_b32 s11, s1
	s_cbranch_execz .LBB3_526
; %bb.525:
	v_mov_b32_e32 v10, s10
	v_mov_b32_e32 v11, v2
	;; [unrolled: 1-line block ×4, first 2 shown]
	global_store_dwordx4 v[8:9], v[10:13], off offset:8
.LBB3_526:
	s_or_b32 exec_lo, exec_lo, s11
	s_lshl_b64 s[8:9], s[8:9], 12
	v_and_or_b32 v0, 0xffffff1f, v0, 32
	v_add_co_u32 v6, vcc_lo, v6, s8
	v_add_co_ci_u32_e64 v7, null, s9, v7, vcc_lo
	s_mov_b32 s8, 0
	v_readfirstlane_b32 s12, v6
	s_mov_b32 s11, s8
	v_add_co_u32 v6, vcc_lo, v6, v30
	s_mov_b32 s9, s8
	s_mov_b32 s10, s8
	v_mov_b32_e32 v3, v2
	v_readfirstlane_b32 s13, v7
	v_mov_b32_e32 v13, s11
	v_add_co_ci_u32_e64 v7, null, 0, v7, vcc_lo
	v_mov_b32_e32 v12, s10
	v_mov_b32_e32 v11, s9
	;; [unrolled: 1-line block ×3, first 2 shown]
	global_store_dwordx4 v30, v[0:3], s[12:13]
	global_store_dwordx4 v30, v[10:13], s[12:13] offset:16
	global_store_dwordx4 v30, v[10:13], s[12:13] offset:32
	;; [unrolled: 1-line block ×3, first 2 shown]
	s_and_saveexec_b32 s8, s1
	s_cbranch_execz .LBB3_534
; %bb.527:
	v_mov_b32_e32 v10, 0
	v_mov_b32_e32 v11, s6
	v_mov_b32_e32 v12, s7
	s_clause 0x1
	global_load_dwordx2 v[13:14], v10, s[2:3] offset:32 glc dlc
	global_load_dwordx2 v[0:1], v10, s[2:3] offset:40
	s_waitcnt vmcnt(0)
	v_readfirstlane_b32 s10, v0
	v_readfirstlane_b32 s11, v1
	s_and_b64 s[10:11], s[10:11], s[6:7]
	s_mul_i32 s9, s11, 24
	s_mul_hi_u32 s11, s10, 24
	s_mul_i32 s10, s10, 24
	s_add_i32 s11, s11, s9
	v_add_co_u32 v4, vcc_lo, v4, s10
	v_add_co_ci_u32_e64 v5, null, s11, v5, vcc_lo
	s_mov_b32 s9, exec_lo
	global_store_dwordx2 v[4:5], v[13:14], off
	s_waitcnt_vscnt null, 0x0
	global_atomic_cmpswap_x2 v[2:3], v10, v[11:14], s[2:3] offset:32 glc
	s_waitcnt vmcnt(0)
	v_cmpx_ne_u64_e64 v[2:3], v[13:14]
	s_cbranch_execz .LBB3_530
; %bb.528:
	s_mov_b32 s10, 0
.LBB3_529:                              ; =>This Inner Loop Header: Depth=1
	v_mov_b32_e32 v0, s6
	v_mov_b32_e32 v1, s7
	s_sleep 1
	global_store_dwordx2 v[4:5], v[2:3], off
	s_waitcnt_vscnt null, 0x0
	global_atomic_cmpswap_x2 v[0:1], v10, v[0:3], s[2:3] offset:32 glc
	s_waitcnt vmcnt(0)
	v_cmp_eq_u64_e32 vcc_lo, v[0:1], v[2:3]
	v_mov_b32_e32 v3, v1
	v_mov_b32_e32 v2, v0
	s_or_b32 s10, vcc_lo, s10
	s_andn2_b32 exec_lo, exec_lo, s10
	s_cbranch_execnz .LBB3_529
.LBB3_530:
	s_or_b32 exec_lo, exec_lo, s9
	v_mov_b32_e32 v3, 0
	s_mov_b32 s10, exec_lo
	s_mov_b32 s9, exec_lo
	v_mbcnt_lo_u32_b32 v2, s10, 0
	global_load_dwordx2 v[0:1], v3, s[2:3] offset:16
	v_cmpx_eq_u32_e32 0, v2
	s_cbranch_execz .LBB3_532
; %bb.531:
	s_bcnt1_i32_b32 s10, s10
	v_mov_b32_e32 v2, s10
	s_waitcnt vmcnt(0)
	global_atomic_add_x2 v[0:1], v[2:3], off offset:8
.LBB3_532:
	s_or_b32 exec_lo, exec_lo, s9
	s_waitcnt vmcnt(0)
	global_load_dwordx2 v[2:3], v[0:1], off offset:16
	s_waitcnt vmcnt(0)
	v_cmp_eq_u64_e32 vcc_lo, 0, v[2:3]
	s_cbranch_vccnz .LBB3_534
; %bb.533:
	global_load_dword v0, v[0:1], off offset:24
	v_mov_b32_e32 v1, 0
	s_waitcnt vmcnt(0)
	v_readfirstlane_b32 s9, v0
	s_waitcnt_vscnt null, 0x0
	global_store_dwordx2 v[2:3], v[0:1], off
	s_and_b32 m0, s9, 0x7fffff
	s_sendmsg sendmsg(MSG_INTERRUPT)
.LBB3_534:
	s_or_b32 exec_lo, exec_lo, s8
	s_branch .LBB3_538
	.p2align	6
.LBB3_535:                              ;   in Loop: Header=BB3_538 Depth=1
	s_or_b32 exec_lo, exec_lo, s8
	v_readfirstlane_b32 s8, v0
	s_cmp_eq_u32 s8, 0
	s_cbranch_scc1 .LBB3_537
; %bb.536:                              ;   in Loop: Header=BB3_538 Depth=1
	s_sleep 1
	s_cbranch_execnz .LBB3_538
	s_branch .LBB3_540
	.p2align	6
.LBB3_537:
	s_branch .LBB3_540
.LBB3_538:                              ; =>This Inner Loop Header: Depth=1
	v_mov_b32_e32 v0, 1
	s_and_saveexec_b32 s8, s1
	s_cbranch_execz .LBB3_535
; %bb.539:                              ;   in Loop: Header=BB3_538 Depth=1
	global_load_dword v0, v[8:9], off offset:20 glc dlc
	s_waitcnt vmcnt(0)
	buffer_gl1_inv
	buffer_gl0_inv
	v_and_b32_e32 v0, 1, v0
	s_branch .LBB3_535
.LBB3_540:
	global_load_dwordx2 v[2:3], v[6:7], off
	s_and_saveexec_b32 s8, s1
	s_cbranch_execz .LBB3_544
; %bb.541:
	v_mov_b32_e32 v8, 0
	s_clause 0x2
	global_load_dwordx2 v[0:1], v8, s[2:3] offset:40
	global_load_dwordx2 v[11:12], v8, s[2:3] offset:24 glc dlc
	global_load_dwordx2 v[4:5], v8, s[2:3]
	s_waitcnt vmcnt(2)
	v_readfirstlane_b32 s10, v0
	v_readfirstlane_b32 s11, v1
	s_add_u32 s1, s10, 1
	s_addc_u32 s9, s11, 0
	s_add_u32 s6, s1, s6
	s_addc_u32 s7, s9, s7
	s_cmp_eq_u64 s[6:7], 0
	s_cselect_b32 s7, s9, s7
	s_cselect_b32 s6, s1, s6
	v_mov_b32_e32 v10, s7
	s_and_b64 s[10:11], s[6:7], s[10:11]
	v_mov_b32_e32 v9, s6
	s_mul_i32 s1, s11, 24
	s_mul_hi_u32 s9, s10, 24
	s_mul_i32 s10, s10, 24
	s_add_i32 s9, s9, s1
	s_waitcnt vmcnt(0)
	v_add_co_u32 v0, vcc_lo, v4, s10
	v_add_co_ci_u32_e64 v1, null, s9, v5, vcc_lo
	global_store_dwordx2 v[0:1], v[11:12], off
	s_waitcnt_vscnt null, 0x0
	global_atomic_cmpswap_x2 v[6:7], v8, v[9:12], s[2:3] offset:24 glc
	s_waitcnt vmcnt(0)
	v_cmp_ne_u64_e32 vcc_lo, v[6:7], v[11:12]
	s_and_b32 exec_lo, exec_lo, vcc_lo
	s_cbranch_execz .LBB3_544
; %bb.542:
	s_mov_b32 s1, 0
.LBB3_543:                              ; =>This Inner Loop Header: Depth=1
	v_mov_b32_e32 v4, s6
	v_mov_b32_e32 v5, s7
	s_sleep 1
	global_store_dwordx2 v[0:1], v[6:7], off
	s_waitcnt_vscnt null, 0x0
	global_atomic_cmpswap_x2 v[4:5], v8, v[4:7], s[2:3] offset:24 glc
	s_waitcnt vmcnt(0)
	v_cmp_eq_u64_e32 vcc_lo, v[4:5], v[6:7]
	v_mov_b32_e32 v7, v5
	v_mov_b32_e32 v6, v4
	s_or_b32 s1, vcc_lo, s1
	s_andn2_b32 exec_lo, exec_lo, s1
	s_cbranch_execnz .LBB3_543
.LBB3_544:
	s_or_b32 exec_lo, exec_lo, s8
.LBB3_545:
	v_readfirstlane_b32 s1, v31
	s_waitcnt vmcnt(0)
	v_mov_b32_e32 v0, 0
	v_mov_b32_e32 v1, 0
	v_cmp_eq_u32_e64 s1, s1, v31
	s_and_saveexec_b32 s6, s1
	s_cbranch_execz .LBB3_551
; %bb.546:
	v_mov_b32_e32 v4, 0
	s_mov_b32 s7, exec_lo
	global_load_dwordx2 v[7:8], v4, s[2:3] offset:24 glc dlc
	s_waitcnt vmcnt(0)
	buffer_gl1_inv
	buffer_gl0_inv
	s_clause 0x1
	global_load_dwordx2 v[0:1], v4, s[2:3] offset:40
	global_load_dwordx2 v[5:6], v4, s[2:3]
	s_waitcnt vmcnt(1)
	v_and_b32_e32 v1, v1, v8
	v_and_b32_e32 v0, v0, v7
	v_mul_lo_u32 v1, v1, 24
	v_mul_hi_u32 v9, v0, 24
	v_mul_lo_u32 v0, v0, 24
	v_add_nc_u32_e32 v1, v9, v1
	s_waitcnt vmcnt(0)
	v_add_co_u32 v0, vcc_lo, v5, v0
	v_add_co_ci_u32_e64 v1, null, v6, v1, vcc_lo
	global_load_dwordx2 v[5:6], v[0:1], off glc dlc
	s_waitcnt vmcnt(0)
	global_atomic_cmpswap_x2 v[0:1], v4, v[5:8], s[2:3] offset:24 glc
	s_waitcnt vmcnt(0)
	buffer_gl1_inv
	buffer_gl0_inv
	v_cmpx_ne_u64_e64 v[0:1], v[7:8]
	s_cbranch_execz .LBB3_550
; %bb.547:
	s_mov_b32 s8, 0
	.p2align	6
.LBB3_548:                              ; =>This Inner Loop Header: Depth=1
	s_sleep 1
	s_clause 0x1
	global_load_dwordx2 v[5:6], v4, s[2:3] offset:40
	global_load_dwordx2 v[9:10], v4, s[2:3]
	v_mov_b32_e32 v8, v1
	v_mov_b32_e32 v7, v0
	s_waitcnt vmcnt(1)
	v_and_b32_e32 v0, v5, v7
	v_and_b32_e32 v5, v6, v8
	s_waitcnt vmcnt(0)
	v_mad_u64_u32 v[0:1], null, v0, 24, v[9:10]
	v_mad_u64_u32 v[5:6], null, v5, 24, v[1:2]
	v_mov_b32_e32 v1, v5
	global_load_dwordx2 v[5:6], v[0:1], off glc dlc
	s_waitcnt vmcnt(0)
	global_atomic_cmpswap_x2 v[0:1], v4, v[5:8], s[2:3] offset:24 glc
	s_waitcnt vmcnt(0)
	buffer_gl1_inv
	buffer_gl0_inv
	v_cmp_eq_u64_e32 vcc_lo, v[0:1], v[7:8]
	s_or_b32 s8, vcc_lo, s8
	s_andn2_b32 exec_lo, exec_lo, s8
	s_cbranch_execnz .LBB3_548
; %bb.549:
	s_or_b32 exec_lo, exec_lo, s8
.LBB3_550:
	s_or_b32 exec_lo, exec_lo, s7
.LBB3_551:
	s_or_b32 exec_lo, exec_lo, s6
	v_mov_b32_e32 v5, 0
	v_readfirstlane_b32 s7, v1
	v_readfirstlane_b32 s6, v0
	s_mov_b32 s10, exec_lo
	s_clause 0x1
	global_load_dwordx2 v[10:11], v5, s[2:3] offset:40
	global_load_dwordx4 v[6:9], v5, s[2:3]
	s_waitcnt vmcnt(1)
	v_readfirstlane_b32 s8, v10
	v_readfirstlane_b32 s9, v11
	s_and_b64 s[8:9], s[8:9], s[6:7]
	s_mul_i32 s11, s9, 24
	s_mul_hi_u32 s12, s8, 24
	s_mul_i32 s13, s8, 24
	s_add_i32 s12, s12, s11
	s_waitcnt vmcnt(0)
	v_add_co_u32 v10, vcc_lo, v6, s13
	v_add_co_ci_u32_e64 v11, null, s12, v7, vcc_lo
	s_and_saveexec_b32 s11, s1
	s_cbranch_execz .LBB3_553
; %bb.552:
	v_mov_b32_e32 v4, s10
	v_mov_b32_e32 v13, v5
	;; [unrolled: 1-line block ×5, first 2 shown]
	global_store_dwordx4 v[10:11], v[12:15], off offset:8
.LBB3_553:
	s_or_b32 exec_lo, exec_lo, s11
	s_lshl_b64 s[8:9], s[8:9], 12
	v_and_or_b32 v2, 0xffffff1f, v2, 32
	v_add_co_u32 v0, vcc_lo, v8, s8
	v_add_co_ci_u32_e64 v1, null, s9, v9, vcc_lo
	s_mov_b32 s8, 0
	v_add_co_u32 v8, vcc_lo, v0, v30
	s_mov_b32 s11, s8
	s_mov_b32 s9, s8
	;; [unrolled: 1-line block ×3, first 2 shown]
	v_mov_b32_e32 v4, 3
	v_readfirstlane_b32 s12, v0
	v_readfirstlane_b32 s13, v1
	v_mov_b32_e32 v15, s11
	v_add_co_ci_u32_e64 v9, null, 0, v1, vcc_lo
	v_mov_b32_e32 v14, s10
	v_mov_b32_e32 v13, s9
	;; [unrolled: 1-line block ×3, first 2 shown]
	global_store_dwordx4 v30, v[2:5], s[12:13]
	global_store_dwordx4 v30, v[12:15], s[12:13] offset:16
	global_store_dwordx4 v30, v[12:15], s[12:13] offset:32
	;; [unrolled: 1-line block ×3, first 2 shown]
	s_and_saveexec_b32 s8, s1
	s_cbranch_execz .LBB3_561
; %bb.554:
	v_mov_b32_e32 v12, 0
	v_mov_b32_e32 v13, s6
	;; [unrolled: 1-line block ×3, first 2 shown]
	s_clause 0x1
	global_load_dwordx2 v[15:16], v12, s[2:3] offset:32 glc dlc
	global_load_dwordx2 v[0:1], v12, s[2:3] offset:40
	s_waitcnt vmcnt(0)
	v_readfirstlane_b32 s10, v0
	v_readfirstlane_b32 s11, v1
	s_and_b64 s[10:11], s[10:11], s[6:7]
	s_mul_i32 s9, s11, 24
	s_mul_hi_u32 s11, s10, 24
	s_mul_i32 s10, s10, 24
	s_add_i32 s11, s11, s9
	v_add_co_u32 v4, vcc_lo, v6, s10
	v_add_co_ci_u32_e64 v5, null, s11, v7, vcc_lo
	s_mov_b32 s9, exec_lo
	global_store_dwordx2 v[4:5], v[15:16], off
	s_waitcnt_vscnt null, 0x0
	global_atomic_cmpswap_x2 v[2:3], v12, v[13:16], s[2:3] offset:32 glc
	s_waitcnt vmcnt(0)
	v_cmpx_ne_u64_e64 v[2:3], v[15:16]
	s_cbranch_execz .LBB3_557
; %bb.555:
	s_mov_b32 s10, 0
.LBB3_556:                              ; =>This Inner Loop Header: Depth=1
	v_mov_b32_e32 v0, s6
	v_mov_b32_e32 v1, s7
	s_sleep 1
	global_store_dwordx2 v[4:5], v[2:3], off
	s_waitcnt_vscnt null, 0x0
	global_atomic_cmpswap_x2 v[0:1], v12, v[0:3], s[2:3] offset:32 glc
	s_waitcnt vmcnt(0)
	v_cmp_eq_u64_e32 vcc_lo, v[0:1], v[2:3]
	v_mov_b32_e32 v3, v1
	v_mov_b32_e32 v2, v0
	s_or_b32 s10, vcc_lo, s10
	s_andn2_b32 exec_lo, exec_lo, s10
	s_cbranch_execnz .LBB3_556
.LBB3_557:
	s_or_b32 exec_lo, exec_lo, s9
	v_mov_b32_e32 v3, 0
	s_mov_b32 s10, exec_lo
	s_mov_b32 s9, exec_lo
	v_mbcnt_lo_u32_b32 v2, s10, 0
	global_load_dwordx2 v[0:1], v3, s[2:3] offset:16
	v_cmpx_eq_u32_e32 0, v2
	s_cbranch_execz .LBB3_559
; %bb.558:
	s_bcnt1_i32_b32 s10, s10
	v_mov_b32_e32 v2, s10
	s_waitcnt vmcnt(0)
	global_atomic_add_x2 v[0:1], v[2:3], off offset:8
.LBB3_559:
	s_or_b32 exec_lo, exec_lo, s9
	s_waitcnt vmcnt(0)
	global_load_dwordx2 v[2:3], v[0:1], off offset:16
	s_waitcnt vmcnt(0)
	v_cmp_eq_u64_e32 vcc_lo, 0, v[2:3]
	s_cbranch_vccnz .LBB3_561
; %bb.560:
	global_load_dword v0, v[0:1], off offset:24
	v_mov_b32_e32 v1, 0
	s_waitcnt vmcnt(0)
	v_readfirstlane_b32 s9, v0
	s_waitcnt_vscnt null, 0x0
	global_store_dwordx2 v[2:3], v[0:1], off
	s_and_b32 m0, s9, 0x7fffff
	s_sendmsg sendmsg(MSG_INTERRUPT)
.LBB3_561:
	s_or_b32 exec_lo, exec_lo, s8
	s_branch .LBB3_565
	.p2align	6
.LBB3_562:                              ;   in Loop: Header=BB3_565 Depth=1
	s_or_b32 exec_lo, exec_lo, s8
	v_readfirstlane_b32 s8, v0
	s_cmp_eq_u32 s8, 0
	s_cbranch_scc1 .LBB3_564
; %bb.563:                              ;   in Loop: Header=BB3_565 Depth=1
	s_sleep 1
	s_cbranch_execnz .LBB3_565
	s_branch .LBB3_567
	.p2align	6
.LBB3_564:
	s_branch .LBB3_567
.LBB3_565:                              ; =>This Inner Loop Header: Depth=1
	v_mov_b32_e32 v0, 1
	s_and_saveexec_b32 s8, s1
	s_cbranch_execz .LBB3_562
; %bb.566:                              ;   in Loop: Header=BB3_565 Depth=1
	global_load_dword v0, v[10:11], off offset:20 glc dlc
	s_waitcnt vmcnt(0)
	buffer_gl1_inv
	buffer_gl0_inv
	v_and_b32_e32 v0, 1, v0
	s_branch .LBB3_562
.LBB3_567:
	global_load_dwordx2 v[0:1], v[8:9], off
	s_and_saveexec_b32 s8, s1
	s_cbranch_execz .LBB3_571
; %bb.568:
	v_mov_b32_e32 v8, 0
	s_clause 0x2
	global_load_dwordx2 v[2:3], v8, s[2:3] offset:40
	global_load_dwordx2 v[11:12], v8, s[2:3] offset:24 glc dlc
	global_load_dwordx2 v[4:5], v8, s[2:3]
	s_waitcnt vmcnt(2)
	v_readfirstlane_b32 s10, v2
	v_readfirstlane_b32 s11, v3
	s_add_u32 s1, s10, 1
	s_addc_u32 s9, s11, 0
	s_add_u32 s6, s1, s6
	s_addc_u32 s7, s9, s7
	s_cmp_eq_u64 s[6:7], 0
	s_cselect_b32 s7, s9, s7
	s_cselect_b32 s6, s1, s6
	v_mov_b32_e32 v10, s7
	s_and_b64 s[10:11], s[6:7], s[10:11]
	v_mov_b32_e32 v9, s6
	s_mul_i32 s1, s11, 24
	s_mul_hi_u32 s9, s10, 24
	s_mul_i32 s10, s10, 24
	s_add_i32 s9, s9, s1
	s_waitcnt vmcnt(0)
	v_add_co_u32 v6, vcc_lo, v4, s10
	v_add_co_ci_u32_e64 v7, null, s9, v5, vcc_lo
	global_store_dwordx2 v[6:7], v[11:12], off
	s_waitcnt_vscnt null, 0x0
	global_atomic_cmpswap_x2 v[4:5], v8, v[9:12], s[2:3] offset:24 glc
	s_waitcnt vmcnt(0)
	v_cmp_ne_u64_e32 vcc_lo, v[4:5], v[11:12]
	s_and_b32 exec_lo, exec_lo, vcc_lo
	s_cbranch_execz .LBB3_571
; %bb.569:
	s_mov_b32 s1, 0
.LBB3_570:                              ; =>This Inner Loop Header: Depth=1
	v_mov_b32_e32 v2, s6
	v_mov_b32_e32 v3, s7
	s_sleep 1
	global_store_dwordx2 v[6:7], v[4:5], off
	s_waitcnt_vscnt null, 0x0
	global_atomic_cmpswap_x2 v[2:3], v8, v[2:5], s[2:3] offset:24 glc
	s_waitcnt vmcnt(0)
	v_cmp_eq_u64_e32 vcc_lo, v[2:3], v[4:5]
	v_mov_b32_e32 v5, v3
	v_mov_b32_e32 v4, v2
	s_or_b32 s1, vcc_lo, s1
	s_andn2_b32 exec_lo, exec_lo, s1
	s_cbranch_execnz .LBB3_570
.LBB3_571:
	s_or_b32 exec_lo, exec_lo, s8
	v_readfirstlane_b32 s1, v31
	v_mov_b32_e32 v8, 0
	v_mov_b32_e32 v9, 0
	v_cmp_eq_u32_e64 s1, s1, v31
	s_and_saveexec_b32 s6, s1
	s_cbranch_execz .LBB3_577
; %bb.572:
	v_mov_b32_e32 v2, 0
	s_mov_b32 s7, exec_lo
	global_load_dwordx2 v[5:6], v2, s[2:3] offset:24 glc dlc
	s_waitcnt vmcnt(0)
	buffer_gl1_inv
	buffer_gl0_inv
	s_clause 0x1
	global_load_dwordx2 v[3:4], v2, s[2:3] offset:40
	global_load_dwordx2 v[7:8], v2, s[2:3]
	s_waitcnt vmcnt(1)
	v_and_b32_e32 v4, v4, v6
	v_and_b32_e32 v3, v3, v5
	v_mul_lo_u32 v4, v4, 24
	v_mul_hi_u32 v9, v3, 24
	v_mul_lo_u32 v3, v3, 24
	v_add_nc_u32_e32 v4, v9, v4
	s_waitcnt vmcnt(0)
	v_add_co_u32 v3, vcc_lo, v7, v3
	v_add_co_ci_u32_e64 v4, null, v8, v4, vcc_lo
	global_load_dwordx2 v[3:4], v[3:4], off glc dlc
	s_waitcnt vmcnt(0)
	global_atomic_cmpswap_x2 v[8:9], v2, v[3:6], s[2:3] offset:24 glc
	s_waitcnt vmcnt(0)
	buffer_gl1_inv
	buffer_gl0_inv
	v_cmpx_ne_u64_e64 v[8:9], v[5:6]
	s_cbranch_execz .LBB3_576
; %bb.573:
	s_mov_b32 s8, 0
	.p2align	6
.LBB3_574:                              ; =>This Inner Loop Header: Depth=1
	s_sleep 1
	s_clause 0x1
	global_load_dwordx2 v[3:4], v2, s[2:3] offset:40
	global_load_dwordx2 v[10:11], v2, s[2:3]
	v_mov_b32_e32 v5, v8
	v_mov_b32_e32 v6, v9
	s_waitcnt vmcnt(1)
	v_and_b32_e32 v3, v3, v5
	v_and_b32_e32 v4, v4, v6
	s_waitcnt vmcnt(0)
	v_mad_u64_u32 v[7:8], null, v3, 24, v[10:11]
	v_mov_b32_e32 v3, v8
	v_mad_u64_u32 v[3:4], null, v4, 24, v[3:4]
	v_mov_b32_e32 v8, v3
	global_load_dwordx2 v[3:4], v[7:8], off glc dlc
	s_waitcnt vmcnt(0)
	global_atomic_cmpswap_x2 v[8:9], v2, v[3:6], s[2:3] offset:24 glc
	s_waitcnt vmcnt(0)
	buffer_gl1_inv
	buffer_gl0_inv
	v_cmp_eq_u64_e32 vcc_lo, v[8:9], v[5:6]
	s_or_b32 s8, vcc_lo, s8
	s_andn2_b32 exec_lo, exec_lo, s8
	s_cbranch_execnz .LBB3_574
; %bb.575:
	s_or_b32 exec_lo, exec_lo, s8
.LBB3_576:
	s_or_b32 exec_lo, exec_lo, s7
.LBB3_577:
	s_or_b32 exec_lo, exec_lo, s6
	v_mov_b32_e32 v3, 0
	v_readfirstlane_b32 s7, v9
	v_readfirstlane_b32 s6, v8
	s_mov_b32 s10, exec_lo
	s_clause 0x1
	global_load_dwordx2 v[10:11], v3, s[2:3] offset:40
	global_load_dwordx4 v[4:7], v3, s[2:3]
	s_waitcnt vmcnt(1)
	v_readfirstlane_b32 s8, v10
	v_readfirstlane_b32 s9, v11
	s_and_b64 s[8:9], s[8:9], s[6:7]
	s_mul_i32 s11, s9, 24
	s_mul_hi_u32 s12, s8, 24
	s_mul_i32 s13, s8, 24
	s_add_i32 s12, s12, s11
	s_waitcnt vmcnt(0)
	v_add_co_u32 v8, vcc_lo, v4, s13
	v_add_co_ci_u32_e64 v9, null, s12, v5, vcc_lo
	s_and_saveexec_b32 s11, s1
	s_cbranch_execz .LBB3_579
; %bb.578:
	v_mov_b32_e32 v2, s10
	v_mov_b32_e32 v11, v3
	;; [unrolled: 1-line block ×5, first 2 shown]
	global_store_dwordx4 v[8:9], v[10:13], off offset:8
.LBB3_579:
	s_or_b32 exec_lo, exec_lo, s11
	s_lshl_b64 s[8:9], s[8:9], 12
	v_cndmask_b32_e64 v2, -1, v29, s0
	v_add_co_u32 v6, vcc_lo, v6, s8
	v_add_co_ci_u32_e64 v7, null, s9, v7, vcc_lo
	s_mov_b32 s8, 0
	v_add_co_u32 v10, vcc_lo, v6, v30
	s_mov_b32 s11, s8
	s_mov_b32 s9, s8
	;; [unrolled: 1-line block ×3, first 2 shown]
	v_and_or_b32 v0, 0xffffff1f, v0, 32
	v_readfirstlane_b32 s12, v6
	v_readfirstlane_b32 s13, v7
	v_mov_b32_e32 v15, s11
	v_add_co_ci_u32_e64 v11, null, 0, v7, vcc_lo
	v_mov_b32_e32 v14, s10
	v_mov_b32_e32 v13, s9
	;; [unrolled: 1-line block ×3, first 2 shown]
	global_store_dwordx4 v30, v[0:3], s[12:13]
	global_store_dwordx4 v30, v[12:15], s[12:13] offset:16
	global_store_dwordx4 v30, v[12:15], s[12:13] offset:32
	;; [unrolled: 1-line block ×3, first 2 shown]
	s_and_saveexec_b32 s0, s1
	s_cbranch_execz .LBB3_587
; %bb.580:
	v_mov_b32_e32 v7, 0
	v_mov_b32_e32 v12, s6
	;; [unrolled: 1-line block ×3, first 2 shown]
	s_clause 0x1
	global_load_dwordx2 v[14:15], v7, s[2:3] offset:32 glc dlc
	global_load_dwordx2 v[0:1], v7, s[2:3] offset:40
	s_waitcnt vmcnt(0)
	v_readfirstlane_b32 s8, v0
	v_readfirstlane_b32 s9, v1
	s_and_b64 s[8:9], s[8:9], s[6:7]
	s_mul_i32 s9, s9, 24
	s_mul_hi_u32 s10, s8, 24
	s_mul_i32 s8, s8, 24
	s_add_i32 s10, s10, s9
	v_add_co_u32 v0, vcc_lo, v4, s8
	v_add_co_ci_u32_e64 v1, null, s10, v5, vcc_lo
	s_mov_b32 s8, exec_lo
	global_store_dwordx2 v[0:1], v[14:15], off
	s_waitcnt_vscnt null, 0x0
	global_atomic_cmpswap_x2 v[5:6], v7, v[12:15], s[2:3] offset:32 glc
	s_waitcnt vmcnt(0)
	v_cmpx_ne_u64_e64 v[5:6], v[14:15]
	s_cbranch_execz .LBB3_583
; %bb.581:
	s_mov_b32 s9, 0
.LBB3_582:                              ; =>This Inner Loop Header: Depth=1
	v_mov_b32_e32 v3, s6
	v_mov_b32_e32 v4, s7
	s_sleep 1
	global_store_dwordx2 v[0:1], v[5:6], off
	s_waitcnt_vscnt null, 0x0
	global_atomic_cmpswap_x2 v[3:4], v7, v[3:6], s[2:3] offset:32 glc
	s_waitcnt vmcnt(0)
	v_cmp_eq_u64_e32 vcc_lo, v[3:4], v[5:6]
	v_mov_b32_e32 v6, v4
	v_mov_b32_e32 v5, v3
	s_or_b32 s9, vcc_lo, s9
	s_andn2_b32 exec_lo, exec_lo, s9
	s_cbranch_execnz .LBB3_582
.LBB3_583:
	s_or_b32 exec_lo, exec_lo, s8
	v_mov_b32_e32 v4, 0
	s_mov_b32 s9, exec_lo
	s_mov_b32 s8, exec_lo
	v_mbcnt_lo_u32_b32 v3, s9, 0
	global_load_dwordx2 v[0:1], v4, s[2:3] offset:16
	v_cmpx_eq_u32_e32 0, v3
	s_cbranch_execz .LBB3_585
; %bb.584:
	s_bcnt1_i32_b32 s9, s9
	v_mov_b32_e32 v3, s9
	s_waitcnt vmcnt(0)
	global_atomic_add_x2 v[0:1], v[3:4], off offset:8
.LBB3_585:
	s_or_b32 exec_lo, exec_lo, s8
	s_waitcnt vmcnt(0)
	global_load_dwordx2 v[3:4], v[0:1], off offset:16
	s_waitcnt vmcnt(0)
	v_cmp_eq_u64_e32 vcc_lo, 0, v[3:4]
	s_cbranch_vccnz .LBB3_587
; %bb.586:
	global_load_dword v0, v[0:1], off offset:24
	v_mov_b32_e32 v1, 0
	s_waitcnt vmcnt(0)
	v_readfirstlane_b32 s8, v0
	s_waitcnt_vscnt null, 0x0
	global_store_dwordx2 v[3:4], v[0:1], off
	s_and_b32 m0, s8, 0x7fffff
	s_sendmsg sendmsg(MSG_INTERRUPT)
.LBB3_587:
	s_or_b32 exec_lo, exec_lo, s0
	s_branch .LBB3_591
	.p2align	6
.LBB3_588:                              ;   in Loop: Header=BB3_591 Depth=1
	s_or_b32 exec_lo, exec_lo, s0
	v_readfirstlane_b32 s0, v0
	s_cmp_eq_u32 s0, 0
	s_cbranch_scc1 .LBB3_590
; %bb.589:                              ;   in Loop: Header=BB3_591 Depth=1
	s_sleep 1
	s_cbranch_execnz .LBB3_591
	s_branch .LBB3_593
	.p2align	6
.LBB3_590:
	s_branch .LBB3_593
.LBB3_591:                              ; =>This Inner Loop Header: Depth=1
	v_mov_b32_e32 v0, 1
	s_and_saveexec_b32 s0, s1
	s_cbranch_execz .LBB3_588
; %bb.592:                              ;   in Loop: Header=BB3_591 Depth=1
	global_load_dword v0, v[8:9], off offset:20 glc dlc
	s_waitcnt vmcnt(0)
	buffer_gl1_inv
	buffer_gl0_inv
	v_and_b32_e32 v0, 1, v0
	s_branch .LBB3_588
.LBB3_593:
	global_load_dwordx2 v[3:4], v[10:11], off
	s_and_saveexec_b32 s8, s1
	s_cbranch_execz .LBB3_597
; %bb.594:
	v_mov_b32_e32 v9, 0
	s_clause 0x2
	global_load_dwordx2 v[0:1], v9, s[2:3] offset:40
	global_load_dwordx2 v[12:13], v9, s[2:3] offset:24 glc dlc
	global_load_dwordx2 v[5:6], v9, s[2:3]
	s_waitcnt vmcnt(2)
	v_readfirstlane_b32 s10, v0
	v_readfirstlane_b32 s11, v1
	s_add_u32 s9, s10, 1
	s_addc_u32 s12, s11, 0
	s_add_u32 s0, s9, s6
	s_addc_u32 s1, s12, s7
	s_cmp_eq_u64 s[0:1], 0
	s_cselect_b32 s1, s12, s1
	s_cselect_b32 s0, s9, s0
	v_mov_b32_e32 v11, s1
	s_and_b64 s[6:7], s[0:1], s[10:11]
	v_mov_b32_e32 v10, s0
	s_mul_i32 s7, s7, 24
	s_mul_hi_u32 s9, s6, 24
	s_mul_i32 s6, s6, 24
	s_add_i32 s9, s9, s7
	s_waitcnt vmcnt(0)
	v_add_co_u32 v0, vcc_lo, v5, s6
	v_add_co_ci_u32_e64 v1, null, s9, v6, vcc_lo
	global_store_dwordx2 v[0:1], v[12:13], off
	s_waitcnt_vscnt null, 0x0
	global_atomic_cmpswap_x2 v[7:8], v9, v[10:13], s[2:3] offset:24 glc
	s_waitcnt vmcnt(0)
	v_cmp_ne_u64_e32 vcc_lo, v[7:8], v[12:13]
	s_and_b32 exec_lo, exec_lo, vcc_lo
	s_cbranch_execz .LBB3_597
; %bb.595:
	s_mov_b32 s6, 0
.LBB3_596:                              ; =>This Inner Loop Header: Depth=1
	v_mov_b32_e32 v5, s0
	v_mov_b32_e32 v6, s1
	s_sleep 1
	global_store_dwordx2 v[0:1], v[7:8], off
	s_waitcnt_vscnt null, 0x0
	global_atomic_cmpswap_x2 v[5:6], v9, v[5:8], s[2:3] offset:24 glc
	s_waitcnt vmcnt(0)
	v_cmp_eq_u64_e32 vcc_lo, v[5:6], v[7:8]
	v_mov_b32_e32 v8, v6
	v_mov_b32_e32 v7, v5
	s_or_b32 s6, vcc_lo, s6
	s_andn2_b32 exec_lo, exec_lo, s6
	s_cbranch_execnz .LBB3_596
.LBB3_597:
	s_or_b32 exec_lo, exec_lo, s8
	v_readfirstlane_b32 s0, v31
	v_mov_b32_e32 v0, 0
	v_mov_b32_e32 v1, 0
	v_cmp_eq_u32_e64 s0, s0, v31
	s_and_saveexec_b32 s1, s0
	s_cbranch_execz .LBB3_603
; %bb.598:
	v_mov_b32_e32 v5, 0
	s_mov_b32 s6, exec_lo
	global_load_dwordx2 v[8:9], v5, s[2:3] offset:24 glc dlc
	s_waitcnt vmcnt(0)
	buffer_gl1_inv
	buffer_gl0_inv
	s_clause 0x1
	global_load_dwordx2 v[0:1], v5, s[2:3] offset:40
	global_load_dwordx2 v[6:7], v5, s[2:3]
	s_waitcnt vmcnt(1)
	v_and_b32_e32 v1, v1, v9
	v_and_b32_e32 v0, v0, v8
	v_mul_lo_u32 v1, v1, 24
	v_mul_hi_u32 v10, v0, 24
	v_mul_lo_u32 v0, v0, 24
	v_add_nc_u32_e32 v1, v10, v1
	s_waitcnt vmcnt(0)
	v_add_co_u32 v0, vcc_lo, v6, v0
	v_add_co_ci_u32_e64 v1, null, v7, v1, vcc_lo
	global_load_dwordx2 v[6:7], v[0:1], off glc dlc
	s_waitcnt vmcnt(0)
	global_atomic_cmpswap_x2 v[0:1], v5, v[6:9], s[2:3] offset:24 glc
	s_waitcnt vmcnt(0)
	buffer_gl1_inv
	buffer_gl0_inv
	v_cmpx_ne_u64_e64 v[0:1], v[8:9]
	s_cbranch_execz .LBB3_602
; %bb.599:
	s_mov_b32 s7, 0
	.p2align	6
.LBB3_600:                              ; =>This Inner Loop Header: Depth=1
	s_sleep 1
	s_clause 0x1
	global_load_dwordx2 v[6:7], v5, s[2:3] offset:40
	global_load_dwordx2 v[10:11], v5, s[2:3]
	v_mov_b32_e32 v9, v1
	v_mov_b32_e32 v8, v0
	s_waitcnt vmcnt(1)
	v_and_b32_e32 v0, v6, v8
	v_and_b32_e32 v6, v7, v9
	s_waitcnt vmcnt(0)
	v_mad_u64_u32 v[0:1], null, v0, 24, v[10:11]
	v_mad_u64_u32 v[6:7], null, v6, 24, v[1:2]
	v_mov_b32_e32 v1, v6
	global_load_dwordx2 v[6:7], v[0:1], off glc dlc
	s_waitcnt vmcnt(0)
	global_atomic_cmpswap_x2 v[0:1], v5, v[6:9], s[2:3] offset:24 glc
	s_waitcnt vmcnt(0)
	buffer_gl1_inv
	buffer_gl0_inv
	v_cmp_eq_u64_e32 vcc_lo, v[0:1], v[8:9]
	s_or_b32 s7, vcc_lo, s7
	s_andn2_b32 exec_lo, exec_lo, s7
	s_cbranch_execnz .LBB3_600
; %bb.601:
	s_or_b32 exec_lo, exec_lo, s7
.LBB3_602:
	s_or_b32 exec_lo, exec_lo, s6
.LBB3_603:
	s_or_b32 exec_lo, exec_lo, s1
	v_mov_b32_e32 v6, 0
	v_readfirstlane_b32 s7, v1
	v_readfirstlane_b32 s6, v0
	s_mov_b32 s1, exec_lo
	s_clause 0x1
	global_load_dwordx2 v[11:12], v6, s[2:3] offset:40
	global_load_dwordx4 v[7:10], v6, s[2:3]
	s_waitcnt vmcnt(1)
	v_readfirstlane_b32 s8, v11
	v_readfirstlane_b32 s9, v12
	s_and_b64 s[8:9], s[8:9], s[6:7]
	s_mul_i32 s10, s9, 24
	s_mul_hi_u32 s11, s8, 24
	s_mul_i32 s12, s8, 24
	s_add_i32 s11, s11, s10
	s_waitcnt vmcnt(0)
	v_add_co_u32 v0, vcc_lo, v7, s12
	v_add_co_ci_u32_e64 v1, null, s11, v8, vcc_lo
	s_and_saveexec_b32 s10, s0
	s_cbranch_execz .LBB3_605
; %bb.604:
	v_mov_b32_e32 v5, s1
	v_mov_b32_e32 v12, v6
	;; [unrolled: 1-line block ×5, first 2 shown]
	global_store_dwordx4 v[0:1], v[11:14], off offset:8
.LBB3_605:
	s_or_b32 exec_lo, exec_lo, s10
	s_lshl_b64 s[8:9], s[8:9], 12
	v_lshrrev_b32_e32 v5, 2, v26
	v_add_co_u32 v9, vcc_lo, v9, s8
	v_add_co_ci_u32_e64 v11, null, s9, v10, vcc_lo
	s_mov_b32 s8, 0
	v_add_co_u32 v10, vcc_lo, v9, v30
	s_mov_b32 s11, s8
	s_mov_b32 s9, s8
	s_mov_b32 s10, s8
	v_and_or_b32 v3, 0xffffff1f, v3, 32
	v_readfirstlane_b32 s12, v9
	v_readfirstlane_b32 s13, v11
	v_mov_b32_e32 v15, s11
	v_add_co_ci_u32_e64 v11, null, 0, v11, vcc_lo
	v_mov_b32_e32 v14, s10
	v_mov_b32_e32 v13, s9
	v_mov_b32_e32 v12, s8
	global_store_dwordx4 v30, v[3:6], s[12:13]
	global_store_dwordx4 v30, v[12:15], s[12:13] offset:16
	global_store_dwordx4 v30, v[12:15], s[12:13] offset:32
	;; [unrolled: 1-line block ×3, first 2 shown]
	s_and_saveexec_b32 s1, s0
	s_cbranch_execz .LBB3_613
; %bb.606:
	v_mov_b32_e32 v12, 0
	v_mov_b32_e32 v13, s6
	;; [unrolled: 1-line block ×3, first 2 shown]
	s_clause 0x1
	global_load_dwordx2 v[15:16], v12, s[2:3] offset:32 glc dlc
	global_load_dwordx2 v[3:4], v12, s[2:3] offset:40
	s_waitcnt vmcnt(0)
	v_readfirstlane_b32 s8, v3
	v_readfirstlane_b32 s9, v4
	s_and_b64 s[8:9], s[8:9], s[6:7]
	s_mul_i32 s9, s9, 24
	s_mul_hi_u32 s10, s8, 24
	s_mul_i32 s8, s8, 24
	s_add_i32 s10, s10, s9
	v_add_co_u32 v3, vcc_lo, v7, s8
	v_add_co_ci_u32_e64 v4, null, s10, v8, vcc_lo
	s_mov_b32 s8, exec_lo
	global_store_dwordx2 v[3:4], v[15:16], off
	s_waitcnt_vscnt null, 0x0
	global_atomic_cmpswap_x2 v[8:9], v12, v[13:16], s[2:3] offset:32 glc
	s_waitcnt vmcnt(0)
	v_cmpx_ne_u64_e64 v[8:9], v[15:16]
	s_cbranch_execz .LBB3_609
; %bb.607:
	s_mov_b32 s9, 0
.LBB3_608:                              ; =>This Inner Loop Header: Depth=1
	v_mov_b32_e32 v6, s6
	v_mov_b32_e32 v7, s7
	s_sleep 1
	global_store_dwordx2 v[3:4], v[8:9], off
	s_waitcnt_vscnt null, 0x0
	global_atomic_cmpswap_x2 v[6:7], v12, v[6:9], s[2:3] offset:32 glc
	s_waitcnt vmcnt(0)
	v_cmp_eq_u64_e32 vcc_lo, v[6:7], v[8:9]
	v_mov_b32_e32 v9, v7
	v_mov_b32_e32 v8, v6
	s_or_b32 s9, vcc_lo, s9
	s_andn2_b32 exec_lo, exec_lo, s9
	s_cbranch_execnz .LBB3_608
.LBB3_609:
	s_or_b32 exec_lo, exec_lo, s8
	v_mov_b32_e32 v7, 0
	s_mov_b32 s9, exec_lo
	s_mov_b32 s8, exec_lo
	v_mbcnt_lo_u32_b32 v6, s9, 0
	global_load_dwordx2 v[3:4], v7, s[2:3] offset:16
	v_cmpx_eq_u32_e32 0, v6
	s_cbranch_execz .LBB3_611
; %bb.610:
	s_bcnt1_i32_b32 s9, s9
	v_mov_b32_e32 v6, s9
	s_waitcnt vmcnt(0)
	global_atomic_add_x2 v[3:4], v[6:7], off offset:8
.LBB3_611:
	s_or_b32 exec_lo, exec_lo, s8
	s_waitcnt vmcnt(0)
	global_load_dwordx2 v[6:7], v[3:4], off offset:16
	s_waitcnt vmcnt(0)
	v_cmp_eq_u64_e32 vcc_lo, 0, v[6:7]
	s_cbranch_vccnz .LBB3_613
; %bb.612:
	global_load_dword v3, v[3:4], off offset:24
	v_mov_b32_e32 v4, 0
	s_waitcnt vmcnt(0)
	v_readfirstlane_b32 s8, v3
	s_waitcnt_vscnt null, 0x0
	global_store_dwordx2 v[6:7], v[3:4], off
	s_and_b32 m0, s8, 0x7fffff
	s_sendmsg sendmsg(MSG_INTERRUPT)
.LBB3_613:
	s_or_b32 exec_lo, exec_lo, s1
	s_branch .LBB3_617
	.p2align	6
.LBB3_614:                              ;   in Loop: Header=BB3_617 Depth=1
	s_or_b32 exec_lo, exec_lo, s1
	v_readfirstlane_b32 s1, v3
	s_cmp_eq_u32 s1, 0
	s_cbranch_scc1 .LBB3_616
; %bb.615:                              ;   in Loop: Header=BB3_617 Depth=1
	s_sleep 1
	s_cbranch_execnz .LBB3_617
	s_branch .LBB3_619
	.p2align	6
.LBB3_616:
	s_branch .LBB3_619
.LBB3_617:                              ; =>This Inner Loop Header: Depth=1
	v_mov_b32_e32 v3, 1
	s_and_saveexec_b32 s1, s0
	s_cbranch_execz .LBB3_614
; %bb.618:                              ;   in Loop: Header=BB3_617 Depth=1
	global_load_dword v3, v[0:1], off offset:20 glc dlc
	s_waitcnt vmcnt(0)
	buffer_gl1_inv
	buffer_gl0_inv
	v_and_b32_e32 v3, 1, v3
	s_branch .LBB3_614
.LBB3_619:
	global_load_dwordx2 v[6:7], v[10:11], off
	s_and_saveexec_b32 s8, s0
	s_cbranch_execz .LBB3_623
; %bb.620:
	v_mov_b32_e32 v3, 0
	s_clause 0x2
	global_load_dwordx2 v[0:1], v3, s[2:3] offset:40
	global_load_dwordx2 v[12:13], v3, s[2:3] offset:24 glc dlc
	global_load_dwordx2 v[8:9], v3, s[2:3]
	s_waitcnt vmcnt(2)
	v_readfirstlane_b32 s10, v0
	v_readfirstlane_b32 s11, v1
	s_add_u32 s9, s10, 1
	s_addc_u32 s12, s11, 0
	s_add_u32 s0, s9, s6
	s_addc_u32 s1, s12, s7
	s_cmp_eq_u64 s[0:1], 0
	s_cselect_b32 s1, s12, s1
	s_cselect_b32 s0, s9, s0
	v_mov_b32_e32 v11, s1
	s_and_b64 s[6:7], s[0:1], s[10:11]
	v_mov_b32_e32 v10, s0
	s_mul_i32 s7, s7, 24
	s_mul_hi_u32 s9, s6, 24
	s_mul_i32 s6, s6, 24
	s_add_i32 s9, s9, s7
	s_waitcnt vmcnt(0)
	v_add_co_u32 v0, vcc_lo, v8, s6
	v_add_co_ci_u32_e64 v1, null, s9, v9, vcc_lo
	global_store_dwordx2 v[0:1], v[12:13], off
	s_waitcnt_vscnt null, 0x0
	global_atomic_cmpswap_x2 v[10:11], v3, v[10:13], s[2:3] offset:24 glc
	s_waitcnt vmcnt(0)
	v_cmp_ne_u64_e32 vcc_lo, v[10:11], v[12:13]
	s_and_b32 exec_lo, exec_lo, vcc_lo
	s_cbranch_execz .LBB3_623
; %bb.621:
	s_mov_b32 s6, 0
.LBB3_622:                              ; =>This Inner Loop Header: Depth=1
	v_mov_b32_e32 v8, s0
	v_mov_b32_e32 v9, s1
	s_sleep 1
	global_store_dwordx2 v[0:1], v[10:11], off
	s_waitcnt_vscnt null, 0x0
	global_atomic_cmpswap_x2 v[8:9], v3, v[8:11], s[2:3] offset:24 glc
	s_waitcnt vmcnt(0)
	v_cmp_eq_u64_e32 vcc_lo, v[8:9], v[10:11]
	v_mov_b32_e32 v11, v9
	v_mov_b32_e32 v10, v8
	s_or_b32 s6, vcc_lo, s6
	s_andn2_b32 exec_lo, exec_lo, s6
	s_cbranch_execnz .LBB3_622
.LBB3_623:
	s_or_b32 exec_lo, exec_lo, s8
	v_readfirstlane_b32 s0, v31
	v_mov_b32_e32 v0, 0
	v_mov_b32_e32 v1, 0
	v_cmp_eq_u32_e64 s0, s0, v31
	s_and_saveexec_b32 s1, s0
	s_cbranch_execz .LBB3_629
; %bb.624:
	v_mov_b32_e32 v3, 0
	s_mov_b32 s6, exec_lo
	global_load_dwordx2 v[10:11], v3, s[2:3] offset:24 glc dlc
	s_waitcnt vmcnt(0)
	buffer_gl1_inv
	buffer_gl0_inv
	s_clause 0x1
	global_load_dwordx2 v[0:1], v3, s[2:3] offset:40
	global_load_dwordx2 v[8:9], v3, s[2:3]
	s_waitcnt vmcnt(1)
	v_and_b32_e32 v1, v1, v11
	v_and_b32_e32 v0, v0, v10
	v_mul_lo_u32 v1, v1, 24
	v_mul_hi_u32 v4, v0, 24
	v_mul_lo_u32 v0, v0, 24
	v_add_nc_u32_e32 v1, v4, v1
	s_waitcnt vmcnt(0)
	v_add_co_u32 v0, vcc_lo, v8, v0
	v_add_co_ci_u32_e64 v1, null, v9, v1, vcc_lo
	global_load_dwordx2 v[8:9], v[0:1], off glc dlc
	s_waitcnt vmcnt(0)
	global_atomic_cmpswap_x2 v[0:1], v3, v[8:11], s[2:3] offset:24 glc
	s_waitcnt vmcnt(0)
	buffer_gl1_inv
	buffer_gl0_inv
	v_cmpx_ne_u64_e64 v[0:1], v[10:11]
	s_cbranch_execz .LBB3_628
; %bb.625:
	s_mov_b32 s7, 0
	.p2align	6
.LBB3_626:                              ; =>This Inner Loop Header: Depth=1
	s_sleep 1
	s_clause 0x1
	global_load_dwordx2 v[8:9], v3, s[2:3] offset:40
	global_load_dwordx2 v[12:13], v3, s[2:3]
	v_mov_b32_e32 v11, v1
	v_mov_b32_e32 v10, v0
	s_waitcnt vmcnt(1)
	v_and_b32_e32 v0, v8, v10
	v_and_b32_e32 v4, v9, v11
	s_waitcnt vmcnt(0)
	v_mad_u64_u32 v[0:1], null, v0, 24, v[12:13]
	v_mad_u64_u32 v[8:9], null, v4, 24, v[1:2]
	v_mov_b32_e32 v1, v8
	global_load_dwordx2 v[8:9], v[0:1], off glc dlc
	s_waitcnt vmcnt(0)
	global_atomic_cmpswap_x2 v[0:1], v3, v[8:11], s[2:3] offset:24 glc
	s_waitcnt vmcnt(0)
	buffer_gl1_inv
	buffer_gl0_inv
	v_cmp_eq_u64_e32 vcc_lo, v[0:1], v[10:11]
	s_or_b32 s7, vcc_lo, s7
	s_andn2_b32 exec_lo, exec_lo, s7
	s_cbranch_execnz .LBB3_626
; %bb.627:
	s_or_b32 exec_lo, exec_lo, s7
.LBB3_628:
	s_or_b32 exec_lo, exec_lo, s6
.LBB3_629:
	s_or_b32 exec_lo, exec_lo, s1
	v_mov_b32_e32 v9, 0
	v_readfirstlane_b32 s7, v1
	v_readfirstlane_b32 s6, v0
	s_mov_b32 s1, exec_lo
	s_clause 0x1
	global_load_dwordx2 v[3:4], v9, s[2:3] offset:40
	global_load_dwordx4 v[10:13], v9, s[2:3]
	s_waitcnt vmcnt(1)
	v_readfirstlane_b32 s8, v3
	v_readfirstlane_b32 s9, v4
	s_and_b64 s[8:9], s[8:9], s[6:7]
	s_mul_i32 s10, s9, 24
	s_mul_hi_u32 s11, s8, 24
	s_mul_i32 s12, s8, 24
	s_add_i32 s11, s11, s10
	s_waitcnt vmcnt(0)
	v_add_co_u32 v0, vcc_lo, v10, s12
	v_add_co_ci_u32_e64 v1, null, s11, v11, vcc_lo
	s_and_saveexec_b32 s10, s0
	s_cbranch_execz .LBB3_631
; %bb.630:
	v_mov_b32_e32 v8, s1
	v_mov_b32_e32 v15, v9
	;; [unrolled: 1-line block ×5, first 2 shown]
	global_store_dwordx4 v[0:1], v[14:17], off offset:8
.LBB3_631:
	s_or_b32 exec_lo, exec_lo, s10
	s_lshl_b64 s[8:9], s[8:9], 12
	s_add_i32 s20, s20, 3
	v_add_co_u32 v3, vcc_lo, v12, s8
	v_add_co_ci_u32_e64 v4, null, s9, v13, vcc_lo
	s_mov_b32 s8, 0
	s_lshr_b32 s1, s20, 2
	s_mov_b32 s11, s8
	s_mov_b32 s9, s8
	;; [unrolled: 1-line block ×3, first 2 shown]
	v_and_or_b32 v6, 0xffffff1d, v6, 34
	v_mov_b32_e32 v8, s1
	v_readfirstlane_b32 s12, v3
	v_readfirstlane_b32 s13, v4
	v_mov_b32_e32 v15, s11
	v_mov_b32_e32 v14, s10
	;; [unrolled: 1-line block ×4, first 2 shown]
	global_store_dwordx4 v30, v[6:9], s[12:13]
	global_store_dwordx4 v30, v[12:15], s[12:13] offset:16
	global_store_dwordx4 v30, v[12:15], s[12:13] offset:32
	;; [unrolled: 1-line block ×3, first 2 shown]
	s_and_saveexec_b32 s1, s0
	s_cbranch_execz .LBB3_639
; %bb.632:
	v_mov_b32_e32 v12, 0
	v_mov_b32_e32 v13, s6
	;; [unrolled: 1-line block ×3, first 2 shown]
	s_clause 0x1
	global_load_dwordx2 v[15:16], v12, s[2:3] offset:32 glc dlc
	global_load_dwordx2 v[3:4], v12, s[2:3] offset:40
	s_waitcnt vmcnt(0)
	v_readfirstlane_b32 s8, v3
	v_readfirstlane_b32 s9, v4
	s_and_b64 s[8:9], s[8:9], s[6:7]
	s_mul_i32 s9, s9, 24
	s_mul_hi_u32 s10, s8, 24
	s_mul_i32 s8, s8, 24
	s_add_i32 s10, s10, s9
	v_add_co_u32 v3, vcc_lo, v10, s8
	v_add_co_ci_u32_e64 v4, null, s10, v11, vcc_lo
	s_mov_b32 s8, exec_lo
	global_store_dwordx2 v[3:4], v[15:16], off
	s_waitcnt_vscnt null, 0x0
	global_atomic_cmpswap_x2 v[8:9], v12, v[13:16], s[2:3] offset:32 glc
	s_waitcnt vmcnt(0)
	v_cmpx_ne_u64_e64 v[8:9], v[15:16]
	s_cbranch_execz .LBB3_635
; %bb.633:
	s_mov_b32 s9, 0
.LBB3_634:                              ; =>This Inner Loop Header: Depth=1
	v_mov_b32_e32 v6, s6
	v_mov_b32_e32 v7, s7
	s_sleep 1
	global_store_dwordx2 v[3:4], v[8:9], off
	s_waitcnt_vscnt null, 0x0
	global_atomic_cmpswap_x2 v[6:7], v12, v[6:9], s[2:3] offset:32 glc
	s_waitcnt vmcnt(0)
	v_cmp_eq_u64_e32 vcc_lo, v[6:7], v[8:9]
	v_mov_b32_e32 v9, v7
	v_mov_b32_e32 v8, v6
	s_or_b32 s9, vcc_lo, s9
	s_andn2_b32 exec_lo, exec_lo, s9
	s_cbranch_execnz .LBB3_634
.LBB3_635:
	s_or_b32 exec_lo, exec_lo, s8
	v_mov_b32_e32 v7, 0
	s_mov_b32 s9, exec_lo
	s_mov_b32 s8, exec_lo
	v_mbcnt_lo_u32_b32 v6, s9, 0
	global_load_dwordx2 v[3:4], v7, s[2:3] offset:16
	v_cmpx_eq_u32_e32 0, v6
	s_cbranch_execz .LBB3_637
; %bb.636:
	s_bcnt1_i32_b32 s9, s9
	v_mov_b32_e32 v6, s9
	s_waitcnt vmcnt(0)
	global_atomic_add_x2 v[3:4], v[6:7], off offset:8
.LBB3_637:
	s_or_b32 exec_lo, exec_lo, s8
	s_waitcnt vmcnt(0)
	global_load_dwordx2 v[6:7], v[3:4], off offset:16
	s_waitcnt vmcnt(0)
	v_cmp_eq_u64_e32 vcc_lo, 0, v[6:7]
	s_cbranch_vccnz .LBB3_639
; %bb.638:
	global_load_dword v3, v[3:4], off offset:24
	v_mov_b32_e32 v4, 0
	s_waitcnt vmcnt(0)
	v_readfirstlane_b32 s8, v3
	s_waitcnt_vscnt null, 0x0
	global_store_dwordx2 v[6:7], v[3:4], off
	s_and_b32 m0, s8, 0x7fffff
	s_sendmsg sendmsg(MSG_INTERRUPT)
.LBB3_639:
	s_or_b32 exec_lo, exec_lo, s1
	s_branch .LBB3_643
	.p2align	6
.LBB3_640:                              ;   in Loop: Header=BB3_643 Depth=1
	s_or_b32 exec_lo, exec_lo, s1
	v_readfirstlane_b32 s1, v3
	s_cmp_eq_u32 s1, 0
	s_cbranch_scc1 .LBB3_642
; %bb.641:                              ;   in Loop: Header=BB3_643 Depth=1
	s_sleep 1
	s_cbranch_execnz .LBB3_643
	s_branch .LBB3_645
	.p2align	6
.LBB3_642:
	s_branch .LBB3_645
.LBB3_643:                              ; =>This Inner Loop Header: Depth=1
	v_mov_b32_e32 v3, 1
	s_and_saveexec_b32 s1, s0
	s_cbranch_execz .LBB3_640
; %bb.644:                              ;   in Loop: Header=BB3_643 Depth=1
	global_load_dword v3, v[0:1], off offset:20 glc dlc
	s_waitcnt vmcnt(0)
	buffer_gl1_inv
	buffer_gl0_inv
	v_and_b32_e32 v3, 1, v3
	s_branch .LBB3_640
.LBB3_645:
	s_and_saveexec_b32 s8, s0
	s_cbranch_execz .LBB3_649
; %bb.646:
	v_mov_b32_e32 v3, 0
	s_clause 0x2
	global_load_dwordx2 v[0:1], v3, s[2:3] offset:40
	global_load_dwordx2 v[10:11], v3, s[2:3] offset:24 glc dlc
	global_load_dwordx2 v[6:7], v3, s[2:3]
	s_waitcnt vmcnt(2)
	v_readfirstlane_b32 s10, v0
	v_readfirstlane_b32 s11, v1
	s_add_u32 s9, s10, 1
	s_addc_u32 s12, s11, 0
	s_add_u32 s0, s9, s6
	s_addc_u32 s1, s12, s7
	s_cmp_eq_u64 s[0:1], 0
	s_cselect_b32 s1, s12, s1
	s_cselect_b32 s0, s9, s0
	v_mov_b32_e32 v9, s1
	s_and_b64 s[6:7], s[0:1], s[10:11]
	v_mov_b32_e32 v8, s0
	s_mul_i32 s7, s7, 24
	s_mul_hi_u32 s9, s6, 24
	s_mul_i32 s6, s6, 24
	s_add_i32 s9, s9, s7
	s_waitcnt vmcnt(0)
	v_add_co_u32 v0, vcc_lo, v6, s6
	v_add_co_ci_u32_e64 v1, null, s9, v7, vcc_lo
	global_store_dwordx2 v[0:1], v[10:11], off
	s_waitcnt_vscnt null, 0x0
	global_atomic_cmpswap_x2 v[8:9], v3, v[8:11], s[2:3] offset:24 glc
	s_waitcnt vmcnt(0)
	v_cmp_ne_u64_e32 vcc_lo, v[8:9], v[10:11]
	s_and_b32 exec_lo, exec_lo, vcc_lo
	s_cbranch_execz .LBB3_649
; %bb.647:
	s_mov_b32 s6, 0
.LBB3_648:                              ; =>This Inner Loop Header: Depth=1
	v_mov_b32_e32 v6, s0
	v_mov_b32_e32 v7, s1
	s_sleep 1
	global_store_dwordx2 v[0:1], v[8:9], off
	s_waitcnt_vscnt null, 0x0
	global_atomic_cmpswap_x2 v[6:7], v3, v[6:9], s[2:3] offset:24 glc
	s_waitcnt vmcnt(0)
	v_cmp_eq_u64_e32 vcc_lo, v[6:7], v[8:9]
	v_mov_b32_e32 v9, v7
	v_mov_b32_e32 v8, v6
	s_or_b32 s6, vcc_lo, s6
	s_andn2_b32 exec_lo, exec_lo, s6
	s_cbranch_execnz .LBB3_648
.LBB3_649:
	s_or_b32 exec_lo, exec_lo, s8
	s_load_dwordx2 s[0:1], s[4:5], 0x0
	v_lshlrev_b32_e32 v0, 2, v5
	s_waitcnt lgkmcnt(0)
	global_store_dword v0, v2, s[0:1]
	s_endpgm
	.section	.rodata,"a",@progbits
	.p2align	6, 0x0
	.amdhsa_kernel _Z32kernel_cg_group_partition_staticILj4EEvPibS0_
		.amdhsa_group_segment_fixed_size 0
		.amdhsa_private_segment_fixed_size 0
		.amdhsa_kernarg_size 280
		.amdhsa_user_sgpr_count 6
		.amdhsa_user_sgpr_private_segment_buffer 1
		.amdhsa_user_sgpr_dispatch_ptr 0
		.amdhsa_user_sgpr_queue_ptr 0
		.amdhsa_user_sgpr_kernarg_segment_ptr 1
		.amdhsa_user_sgpr_dispatch_id 0
		.amdhsa_user_sgpr_flat_scratch_init 0
		.amdhsa_user_sgpr_private_segment_size 0
		.amdhsa_wavefront_size32 1
		.amdhsa_uses_dynamic_stack 0
		.amdhsa_system_sgpr_private_segment_wavefront_offset 0
		.amdhsa_system_sgpr_workgroup_id_x 1
		.amdhsa_system_sgpr_workgroup_id_y 0
		.amdhsa_system_sgpr_workgroup_id_z 0
		.amdhsa_system_sgpr_workgroup_info 0
		.amdhsa_system_vgpr_workitem_id 2
		.amdhsa_next_free_vgpr 36
		.amdhsa_next_free_sgpr 28
		.amdhsa_reserve_vcc 1
		.amdhsa_reserve_flat_scratch 0
		.amdhsa_float_round_mode_32 0
		.amdhsa_float_round_mode_16_64 0
		.amdhsa_float_denorm_mode_32 3
		.amdhsa_float_denorm_mode_16_64 3
		.amdhsa_dx10_clamp 1
		.amdhsa_ieee_mode 1
		.amdhsa_fp16_overflow 0
		.amdhsa_workgroup_processor_mode 1
		.amdhsa_memory_ordered 1
		.amdhsa_forward_progress 1
		.amdhsa_shared_vgpr_count 0
		.amdhsa_exception_fp_ieee_invalid_op 0
		.amdhsa_exception_fp_denorm_src 0
		.amdhsa_exception_fp_ieee_div_zero 0
		.amdhsa_exception_fp_ieee_overflow 0
		.amdhsa_exception_fp_ieee_underflow 0
		.amdhsa_exception_fp_ieee_inexact 0
		.amdhsa_exception_int_div_zero 0
	.end_amdhsa_kernel
	.section	.text._Z32kernel_cg_group_partition_staticILj4EEvPibS0_,"axG",@progbits,_Z32kernel_cg_group_partition_staticILj4EEvPibS0_,comdat
.Lfunc_end3:
	.size	_Z32kernel_cg_group_partition_staticILj4EEvPibS0_, .Lfunc_end3-_Z32kernel_cg_group_partition_staticILj4EEvPibS0_
                                        ; -- End function
	.set _Z32kernel_cg_group_partition_staticILj4EEvPibS0_.num_vgpr, 36
	.set _Z32kernel_cg_group_partition_staticILj4EEvPibS0_.num_agpr, 0
	.set _Z32kernel_cg_group_partition_staticILj4EEvPibS0_.numbered_sgpr, 28
	.set _Z32kernel_cg_group_partition_staticILj4EEvPibS0_.num_named_barrier, 0
	.set _Z32kernel_cg_group_partition_staticILj4EEvPibS0_.private_seg_size, 0
	.set _Z32kernel_cg_group_partition_staticILj4EEvPibS0_.uses_vcc, 1
	.set _Z32kernel_cg_group_partition_staticILj4EEvPibS0_.uses_flat_scratch, 0
	.set _Z32kernel_cg_group_partition_staticILj4EEvPibS0_.has_dyn_sized_stack, 0
	.set _Z32kernel_cg_group_partition_staticILj4EEvPibS0_.has_recursion, 0
	.set _Z32kernel_cg_group_partition_staticILj4EEvPibS0_.has_indirect_call, 0
	.section	.AMDGPU.csdata,"",@progbits
; Kernel info:
; codeLenInByte = 28088
; TotalNumSgprs: 30
; NumVgprs: 36
; ScratchSize: 0
; MemoryBound: 0
; FloatMode: 240
; IeeeMode: 1
; LDSByteSize: 0 bytes/workgroup (compile time only)
; SGPRBlocks: 0
; VGPRBlocks: 4
; NumSGPRsForWavesPerEU: 30
; NumVGPRsForWavesPerEU: 36
; Occupancy: 16
; WaveLimiterHint : 1
; COMPUTE_PGM_RSRC2:SCRATCH_EN: 0
; COMPUTE_PGM_RSRC2:USER_SGPR: 6
; COMPUTE_PGM_RSRC2:TRAP_HANDLER: 0
; COMPUTE_PGM_RSRC2:TGID_X_EN: 1
; COMPUTE_PGM_RSRC2:TGID_Y_EN: 0
; COMPUTE_PGM_RSRC2:TGID_Z_EN: 0
; COMPUTE_PGM_RSRC2:TIDIG_COMP_CNT: 2
	.section	.text._Z32kernel_cg_group_partition_staticILj8EEvPibS0_,"axG",@progbits,_Z32kernel_cg_group_partition_staticILj8EEvPibS0_,comdat
	.protected	_Z32kernel_cg_group_partition_staticILj8EEvPibS0_ ; -- Begin function _Z32kernel_cg_group_partition_staticILj8EEvPibS0_
	.globl	_Z32kernel_cg_group_partition_staticILj8EEvPibS0_
	.p2align	8
	.type	_Z32kernel_cg_group_partition_staticILj8EEvPibS0_,@function
_Z32kernel_cg_group_partition_staticILj8EEvPibS0_: ; @_Z32kernel_cg_group_partition_staticILj8EEvPibS0_
; %bb.0:
	s_mov_b64 s[0:1], src_shared_base
	s_clause 0x2
	s_load_dword s0, s[4:5], 0x8
	s_load_dwordx2 s[6:7], s[4:5], 0x24
	s_load_dwordx2 s[8:9], s[4:5], 0x10
	s_waitcnt lgkmcnt(0)
	s_and_b32 s0, 1, s0
	s_add_u32 s2, s4, 24
	s_addc_u32 s3, s5, 0
	s_lshr_b32 s10, s6, 16
	s_and_b32 s6, s6, 0xffff
	v_mad_u32_u24 v1, v2, s10, v1
	s_and_b32 s7, s7, 0xffff
	s_cmp_lg_u32 0, -1
	s_mul_i32 s20, s10, s6
	s_cselect_b32 s11, 0, 0
	v_mad_u64_u32 v[26:27], null, v1, s6, v[0:1]
	s_cselect_b32 s1, s1, 0
	s_cmp_eq_u32 s0, 1
	s_mul_i32 s20, s20, s7
	s_cselect_b32 s21, s9, s1
	s_cselect_b32 s22, s8, s11
	s_cmp_lt_u32 s20, 2
	v_mov_b32_e32 v29, v26
	v_mov_b32_e32 v32, v26
	s_mov_b32 s1, 0
	s_cbranch_scc1 .LBB4_6
; %bb.1:
	v_ashrrev_i32_e32 v27, 31, v26
	v_mov_b32_e32 v32, v29
	s_mov_b32 s6, s20
	v_lshlrev_b64 v[0:1], 2, v[26:27]
	v_add_co_u32 v0, vcc_lo, s22, v0
	v_add_co_ci_u32_e64 v1, null, s21, v1, vcc_lo
	.p2align	6
.LBB4_2:                                ; =>This Inner Loop Header: Depth=1
	s_lshr_b32 s0, s6, 1
	s_mov_b32 s7, exec_lo
	flat_store_dword v[0:1], v32
	s_waitcnt lgkmcnt(0)
	s_waitcnt_vscnt null, 0x0
	s_barrier
	buffer_gl0_inv
	v_cmpx_gt_i32_e64 s0, v26
	s_cbranch_execz .LBB4_4
; %bb.3:                                ;   in Loop: Header=BB4_2 Depth=1
	s_lshl_b64 s[8:9], s[0:1], 2
	v_add_co_u32 v2, vcc_lo, v0, s8
	v_add_co_ci_u32_e64 v3, null, s9, v1, vcc_lo
	flat_load_dword v2, v[2:3]
	s_waitcnt vmcnt(0) lgkmcnt(0)
	v_add_nc_u32_e32 v32, v2, v32
.LBB4_4:                                ;   in Loop: Header=BB4_2 Depth=1
	s_or_b32 exec_lo, exec_lo, s7
	s_cmp_gt_u32 s6, 3
	s_barrier
	buffer_gl0_inv
	s_cbranch_scc0 .LBB4_6
; %bb.5:                                ;   in Loop: Header=BB4_2 Depth=1
	s_mov_b32 s6, s0
	s_branch .LBB4_2
.LBB4_6:
	v_cmp_eq_u32_e64 s0, 0, v26
	s_and_saveexec_b32 s23, s0
	s_cbranch_execz .LBB4_402
; %bb.7:
	s_load_dwordx2 s[6:7], s[2:3], 0x50
	v_mbcnt_lo_u32_b32 v31, -1, 0
	v_mov_b32_e32 v6, 0
	v_mov_b32_e32 v7, 0
	v_readfirstlane_b32 s1, v31
	v_cmp_eq_u32_e64 s1, s1, v31
	s_and_saveexec_b32 s8, s1
	s_cbranch_execz .LBB4_13
; %bb.8:
	v_mov_b32_e32 v0, 0
	s_mov_b32 s9, exec_lo
	s_waitcnt lgkmcnt(0)
	global_load_dwordx2 v[3:4], v0, s[6:7] offset:24 glc dlc
	s_waitcnt vmcnt(0)
	buffer_gl1_inv
	buffer_gl0_inv
	s_clause 0x1
	global_load_dwordx2 v[1:2], v0, s[6:7] offset:40
	global_load_dwordx2 v[5:6], v0, s[6:7]
	s_waitcnt vmcnt(1)
	v_and_b32_e32 v2, v2, v4
	v_and_b32_e32 v1, v1, v3
	v_mul_lo_u32 v2, v2, 24
	v_mul_hi_u32 v7, v1, 24
	v_mul_lo_u32 v1, v1, 24
	v_add_nc_u32_e32 v2, v7, v2
	s_waitcnt vmcnt(0)
	v_add_co_u32 v1, vcc_lo, v5, v1
	v_add_co_ci_u32_e64 v2, null, v6, v2, vcc_lo
	global_load_dwordx2 v[1:2], v[1:2], off glc dlc
	s_waitcnt vmcnt(0)
	global_atomic_cmpswap_x2 v[6:7], v0, v[1:4], s[6:7] offset:24 glc
	s_waitcnt vmcnt(0)
	buffer_gl1_inv
	buffer_gl0_inv
	v_cmpx_ne_u64_e64 v[6:7], v[3:4]
	s_cbranch_execz .LBB4_12
; %bb.9:
	s_mov_b32 s10, 0
	.p2align	6
.LBB4_10:                               ; =>This Inner Loop Header: Depth=1
	s_sleep 1
	s_clause 0x1
	global_load_dwordx2 v[1:2], v0, s[6:7] offset:40
	global_load_dwordx2 v[8:9], v0, s[6:7]
	v_mov_b32_e32 v3, v6
	v_mov_b32_e32 v4, v7
	s_waitcnt vmcnt(1)
	v_and_b32_e32 v1, v1, v3
	v_and_b32_e32 v2, v2, v4
	s_waitcnt vmcnt(0)
	v_mad_u64_u32 v[5:6], null, v1, 24, v[8:9]
	v_mov_b32_e32 v1, v6
	v_mad_u64_u32 v[1:2], null, v2, 24, v[1:2]
	v_mov_b32_e32 v6, v1
	global_load_dwordx2 v[1:2], v[5:6], off glc dlc
	s_waitcnt vmcnt(0)
	global_atomic_cmpswap_x2 v[6:7], v0, v[1:4], s[6:7] offset:24 glc
	s_waitcnt vmcnt(0)
	buffer_gl1_inv
	buffer_gl0_inv
	v_cmp_eq_u64_e32 vcc_lo, v[6:7], v[3:4]
	s_or_b32 s10, vcc_lo, s10
	s_andn2_b32 exec_lo, exec_lo, s10
	s_cbranch_execnz .LBB4_10
; %bb.11:
	s_or_b32 exec_lo, exec_lo, s10
.LBB4_12:
	s_or_b32 exec_lo, exec_lo, s9
.LBB4_13:
	s_or_b32 exec_lo, exec_lo, s8
	v_mov_b32_e32 v5, 0
	v_readfirstlane_b32 s9, v7
	v_readfirstlane_b32 s8, v6
	s_mov_b32 s12, exec_lo
	s_waitcnt lgkmcnt(0)
	s_clause 0x1
	global_load_dwordx2 v[8:9], v5, s[6:7] offset:40
	global_load_dwordx4 v[0:3], v5, s[6:7]
	s_waitcnt vmcnt(1)
	v_readfirstlane_b32 s10, v8
	v_readfirstlane_b32 s11, v9
	s_and_b64 s[10:11], s[10:11], s[8:9]
	s_mul_i32 s13, s11, 24
	s_mul_hi_u32 s14, s10, 24
	s_mul_i32 s15, s10, 24
	s_add_i32 s14, s14, s13
	s_waitcnt vmcnt(0)
	v_add_co_u32 v8, vcc_lo, v0, s15
	v_add_co_ci_u32_e64 v9, null, s14, v1, vcc_lo
	s_and_saveexec_b32 s13, s1
	s_cbranch_execz .LBB4_15
; %bb.14:
	v_mov_b32_e32 v4, s12
	v_mov_b32_e32 v6, 2
	v_mov_b32_e32 v7, 1
	global_store_dwordx4 v[8:9], v[4:7], off offset:8
.LBB4_15:
	s_or_b32 exec_lo, exec_lo, s13
	s_lshl_b64 s[10:11], s[10:11], 12
	v_lshlrev_b32_e32 v30, 6, v31
	v_add_co_u32 v2, vcc_lo, v2, s10
	v_add_co_ci_u32_e64 v3, null, s11, v3, vcc_lo
	s_mov_b32 s12, 0
	v_add_co_u32 v10, vcc_lo, v2, v30
	s_mov_b32 s13, s12
	s_mov_b32 s14, s12
	s_mov_b32 s15, s12
	v_mov_b32_e32 v4, 33
	v_mov_b32_e32 v6, v5
	;; [unrolled: 1-line block ×3, first 2 shown]
	v_readfirstlane_b32 s10, v2
	v_readfirstlane_b32 s11, v3
	v_mov_b32_e32 v12, s12
	v_add_co_ci_u32_e64 v11, null, 0, v3, vcc_lo
	v_mov_b32_e32 v13, s13
	v_mov_b32_e32 v14, s14
	;; [unrolled: 1-line block ×3, first 2 shown]
	global_store_dwordx4 v30, v[4:7], s[10:11]
	global_store_dwordx4 v30, v[12:15], s[10:11] offset:16
	global_store_dwordx4 v30, v[12:15], s[10:11] offset:32
	;; [unrolled: 1-line block ×3, first 2 shown]
	s_and_saveexec_b32 s10, s1
	s_cbranch_execz .LBB4_22
; %bb.16:
	v_mov_b32_e32 v6, 0
	v_mov_b32_e32 v12, s8
	;; [unrolled: 1-line block ×3, first 2 shown]
	s_mov_b32 s11, exec_lo
	s_clause 0x1
	global_load_dwordx2 v[14:15], v6, s[6:7] offset:32 glc dlc
	global_load_dwordx2 v[2:3], v6, s[6:7] offset:40
	s_waitcnt vmcnt(0)
	v_and_b32_e32 v3, s9, v3
	v_and_b32_e32 v2, s8, v2
	v_mul_lo_u32 v3, v3, 24
	v_mul_hi_u32 v4, v2, 24
	v_mul_lo_u32 v2, v2, 24
	v_add_nc_u32_e32 v3, v4, v3
	v_add_co_u32 v4, vcc_lo, v0, v2
	v_add_co_ci_u32_e64 v5, null, v1, v3, vcc_lo
	global_store_dwordx2 v[4:5], v[14:15], off
	s_waitcnt_vscnt null, 0x0
	global_atomic_cmpswap_x2 v[2:3], v6, v[12:15], s[6:7] offset:32 glc
	s_waitcnt vmcnt(0)
	v_cmpx_ne_u64_e64 v[2:3], v[14:15]
	s_cbranch_execz .LBB4_18
.LBB4_17:                               ; =>This Inner Loop Header: Depth=1
	v_mov_b32_e32 v0, s8
	v_mov_b32_e32 v1, s9
	s_sleep 1
	global_store_dwordx2 v[4:5], v[2:3], off
	s_waitcnt_vscnt null, 0x0
	global_atomic_cmpswap_x2 v[0:1], v6, v[0:3], s[6:7] offset:32 glc
	s_waitcnt vmcnt(0)
	v_cmp_eq_u64_e32 vcc_lo, v[0:1], v[2:3]
	v_mov_b32_e32 v3, v1
	v_mov_b32_e32 v2, v0
	s_or_b32 s12, vcc_lo, s12
	s_andn2_b32 exec_lo, exec_lo, s12
	s_cbranch_execnz .LBB4_17
.LBB4_18:
	s_or_b32 exec_lo, exec_lo, s11
	v_mov_b32_e32 v3, 0
	s_mov_b32 s12, exec_lo
	s_mov_b32 s11, exec_lo
	v_mbcnt_lo_u32_b32 v2, s12, 0
	global_load_dwordx2 v[0:1], v3, s[6:7] offset:16
	v_cmpx_eq_u32_e32 0, v2
	s_cbranch_execz .LBB4_20
; %bb.19:
	s_bcnt1_i32_b32 s12, s12
	v_mov_b32_e32 v2, s12
	s_waitcnt vmcnt(0)
	global_atomic_add_x2 v[0:1], v[2:3], off offset:8
.LBB4_20:
	s_or_b32 exec_lo, exec_lo, s11
	s_waitcnt vmcnt(0)
	global_load_dwordx2 v[2:3], v[0:1], off offset:16
	s_waitcnt vmcnt(0)
	v_cmp_eq_u64_e32 vcc_lo, 0, v[2:3]
	s_cbranch_vccnz .LBB4_22
; %bb.21:
	global_load_dword v0, v[0:1], off offset:24
	v_mov_b32_e32 v1, 0
	s_waitcnt vmcnt(0)
	v_readfirstlane_b32 s11, v0
	s_waitcnt_vscnt null, 0x0
	global_store_dwordx2 v[2:3], v[0:1], off
	s_and_b32 m0, s11, 0x7fffff
	s_sendmsg sendmsg(MSG_INTERRUPT)
.LBB4_22:
	s_or_b32 exec_lo, exec_lo, s10
	s_branch .LBB4_26
	.p2align	6
.LBB4_23:                               ;   in Loop: Header=BB4_26 Depth=1
	s_or_b32 exec_lo, exec_lo, s10
	v_readfirstlane_b32 s10, v0
	s_cmp_eq_u32 s10, 0
	s_cbranch_scc1 .LBB4_25
; %bb.24:                               ;   in Loop: Header=BB4_26 Depth=1
	s_sleep 1
	s_cbranch_execnz .LBB4_26
	s_branch .LBB4_28
	.p2align	6
.LBB4_25:
	s_branch .LBB4_28
.LBB4_26:                               ; =>This Inner Loop Header: Depth=1
	v_mov_b32_e32 v0, 1
	s_and_saveexec_b32 s10, s1
	s_cbranch_execz .LBB4_23
; %bb.27:                               ;   in Loop: Header=BB4_26 Depth=1
	global_load_dword v0, v[8:9], off offset:20 glc dlc
	s_waitcnt vmcnt(0)
	buffer_gl1_inv
	buffer_gl0_inv
	v_and_b32_e32 v0, 1, v0
	s_branch .LBB4_23
.LBB4_28:
	global_load_dwordx2 v[0:1], v[10:11], off
	s_and_saveexec_b32 s10, s1
	s_cbranch_execz .LBB4_32
; %bb.29:
	v_mov_b32_e32 v8, 0
	s_clause 0x2
	global_load_dwordx2 v[2:3], v8, s[6:7] offset:40
	global_load_dwordx2 v[11:12], v8, s[6:7] offset:24 glc dlc
	global_load_dwordx2 v[4:5], v8, s[6:7]
	s_waitcnt vmcnt(2)
	v_readfirstlane_b32 s12, v2
	v_readfirstlane_b32 s13, v3
	s_add_u32 s1, s12, 1
	s_addc_u32 s11, s13, 0
	s_add_u32 s8, s1, s8
	s_addc_u32 s9, s11, s9
	s_cmp_eq_u64 s[8:9], 0
	s_cselect_b32 s9, s11, s9
	s_cselect_b32 s8, s1, s8
	v_mov_b32_e32 v10, s9
	s_and_b64 s[12:13], s[8:9], s[12:13]
	v_mov_b32_e32 v9, s8
	s_mul_i32 s1, s13, 24
	s_mul_hi_u32 s11, s12, 24
	s_mul_i32 s12, s12, 24
	s_add_i32 s11, s11, s1
	s_waitcnt vmcnt(0)
	v_add_co_u32 v6, vcc_lo, v4, s12
	v_add_co_ci_u32_e64 v7, null, s11, v5, vcc_lo
	global_store_dwordx2 v[6:7], v[11:12], off
	s_waitcnt_vscnt null, 0x0
	global_atomic_cmpswap_x2 v[4:5], v8, v[9:12], s[6:7] offset:24 glc
	s_waitcnt vmcnt(0)
	v_cmp_ne_u64_e32 vcc_lo, v[4:5], v[11:12]
	s_and_b32 exec_lo, exec_lo, vcc_lo
	s_cbranch_execz .LBB4_32
; %bb.30:
	s_mov_b32 s1, 0
.LBB4_31:                               ; =>This Inner Loop Header: Depth=1
	v_mov_b32_e32 v2, s8
	v_mov_b32_e32 v3, s9
	s_sleep 1
	global_store_dwordx2 v[6:7], v[4:5], off
	s_waitcnt_vscnt null, 0x0
	global_atomic_cmpswap_x2 v[2:3], v8, v[2:5], s[6:7] offset:24 glc
	s_waitcnt vmcnt(0)
	v_cmp_eq_u64_e32 vcc_lo, v[2:3], v[4:5]
	v_mov_b32_e32 v5, v3
	v_mov_b32_e32 v4, v2
	s_or_b32 s1, vcc_lo, s1
	s_andn2_b32 exec_lo, exec_lo, s1
	s_cbranch_execnz .LBB4_31
.LBB4_32:
	s_or_b32 exec_lo, exec_lo, s10
	s_getpc_b64 s[8:9]
	s_add_u32 s8, s8, .str.8@rel32@lo+4
	s_addc_u32 s9, s9, .str.8@rel32@hi+12
	s_cmp_lg_u64 s[8:9], 0
	s_cbranch_scc0 .LBB4_111
; %bb.33:
	s_waitcnt vmcnt(0)
	v_and_b32_e32 v33, 2, v0
	v_mov_b32_e32 v7, 0
	v_and_b32_e32 v2, -3, v0
	v_mov_b32_e32 v3, v1
	v_mov_b32_e32 v8, 2
	;; [unrolled: 1-line block ×3, first 2 shown]
	s_mov_b64 s[10:11], 0x4d
	s_branch .LBB4_35
.LBB4_34:                               ;   in Loop: Header=BB4_35 Depth=1
	s_or_b32 exec_lo, exec_lo, s16
	s_sub_u32 s10, s10, s12
	s_subb_u32 s11, s11, s13
	s_add_u32 s8, s8, s12
	s_addc_u32 s9, s9, s13
	s_cmp_lg_u64 s[10:11], 0
	s_cbranch_scc0 .LBB4_110
.LBB4_35:                               ; =>This Loop Header: Depth=1
                                        ;     Child Loop BB4_38 Depth 2
                                        ;     Child Loop BB4_45 Depth 2
	;; [unrolled: 1-line block ×11, first 2 shown]
	v_cmp_lt_u64_e64 s1, s[10:11], 56
	v_cmp_gt_u64_e64 s16, s[10:11], 7
	s_and_b32 s1, s1, exec_lo
	s_cselect_b32 s13, s11, 0
	s_cselect_b32 s12, s10, 56
	s_add_u32 s14, s8, 8
	s_addc_u32 s15, s9, 0
	s_and_b32 vcc_lo, exec_lo, s16
	s_cbranch_vccnz .LBB4_40
; %bb.36:                               ;   in Loop: Header=BB4_35 Depth=1
	v_mov_b32_e32 v4, 0
	v_mov_b32_e32 v5, 0
	s_cmp_eq_u64 s[10:11], 0
	s_cbranch_scc1 .LBB4_39
; %bb.37:                               ;   in Loop: Header=BB4_35 Depth=1
	s_lshl_b64 s[14:15], s[12:13], 3
	s_mov_b64 s[16:17], 0
	s_mov_b64 s[18:19], s[8:9]
.LBB4_38:                               ;   Parent Loop BB4_35 Depth=1
                                        ; =>  This Inner Loop Header: Depth=2
	global_load_ubyte v6, v7, s[18:19]
	s_waitcnt vmcnt(0)
	v_and_b32_e32 v6, 0xffff, v6
	v_lshlrev_b64 v[10:11], s16, v[6:7]
	s_add_u32 s16, s16, 8
	s_addc_u32 s17, s17, 0
	s_add_u32 s18, s18, 1
	s_addc_u32 s19, s19, 0
	s_cmp_lg_u32 s14, s16
	v_or_b32_e32 v4, v10, v4
	v_or_b32_e32 v5, v11, v5
	s_cbranch_scc1 .LBB4_38
.LBB4_39:                               ;   in Loop: Header=BB4_35 Depth=1
	s_mov_b64 s[14:15], s[8:9]
	s_mov_b32 s1, 0
	s_cbranch_execz .LBB4_41
	s_branch .LBB4_42
.LBB4_40:                               ;   in Loop: Header=BB4_35 Depth=1
	s_mov_b32 s1, 0
.LBB4_41:                               ;   in Loop: Header=BB4_35 Depth=1
	global_load_dwordx2 v[4:5], v7, s[8:9]
	s_add_i32 s1, s12, -8
.LBB4_42:                               ;   in Loop: Header=BB4_35 Depth=1
	s_add_u32 s16, s14, 8
	s_addc_u32 s17, s15, 0
	s_cmp_gt_u32 s1, 7
	s_cbranch_scc1 .LBB4_47
; %bb.43:                               ;   in Loop: Header=BB4_35 Depth=1
	v_mov_b32_e32 v10, 0
	v_mov_b32_e32 v11, 0
	s_cmp_eq_u32 s1, 0
	s_cbranch_scc1 .LBB4_46
; %bb.44:                               ;   in Loop: Header=BB4_35 Depth=1
	s_mov_b64 s[16:17], 0
	s_mov_b64 s[18:19], 0
.LBB4_45:                               ;   Parent Loop BB4_35 Depth=1
                                        ; =>  This Inner Loop Header: Depth=2
	s_add_u32 s24, s14, s18
	s_addc_u32 s25, s15, s19
	s_add_u32 s18, s18, 1
	global_load_ubyte v6, v7, s[24:25]
	s_addc_u32 s19, s19, 0
	s_waitcnt vmcnt(0)
	v_and_b32_e32 v6, 0xffff, v6
	v_lshlrev_b64 v[12:13], s16, v[6:7]
	s_add_u32 s16, s16, 8
	s_addc_u32 s17, s17, 0
	s_cmp_lg_u32 s1, s18
	v_or_b32_e32 v10, v12, v10
	v_or_b32_e32 v11, v13, v11
	s_cbranch_scc1 .LBB4_45
.LBB4_46:                               ;   in Loop: Header=BB4_35 Depth=1
	s_mov_b64 s[16:17], s[14:15]
	s_mov_b32 s24, 0
	s_cbranch_execz .LBB4_48
	s_branch .LBB4_49
.LBB4_47:                               ;   in Loop: Header=BB4_35 Depth=1
                                        ; implicit-def: $vgpr10_vgpr11
	s_mov_b32 s24, 0
.LBB4_48:                               ;   in Loop: Header=BB4_35 Depth=1
	global_load_dwordx2 v[10:11], v7, s[14:15]
	s_add_i32 s24, s1, -8
.LBB4_49:                               ;   in Loop: Header=BB4_35 Depth=1
	s_add_u32 s14, s16, 8
	s_addc_u32 s15, s17, 0
	s_cmp_gt_u32 s24, 7
	s_cbranch_scc1 .LBB4_54
; %bb.50:                               ;   in Loop: Header=BB4_35 Depth=1
	v_mov_b32_e32 v12, 0
	v_mov_b32_e32 v13, 0
	s_cmp_eq_u32 s24, 0
	s_cbranch_scc1 .LBB4_53
; %bb.51:                               ;   in Loop: Header=BB4_35 Depth=1
	s_mov_b64 s[14:15], 0
	s_mov_b64 s[18:19], 0
.LBB4_52:                               ;   Parent Loop BB4_35 Depth=1
                                        ; =>  This Inner Loop Header: Depth=2
	s_add_u32 s26, s16, s18
	s_addc_u32 s27, s17, s19
	s_add_u32 s18, s18, 1
	global_load_ubyte v6, v7, s[26:27]
	s_addc_u32 s19, s19, 0
	s_waitcnt vmcnt(0)
	v_and_b32_e32 v6, 0xffff, v6
	v_lshlrev_b64 v[14:15], s14, v[6:7]
	s_add_u32 s14, s14, 8
	s_addc_u32 s15, s15, 0
	s_cmp_lg_u32 s24, s18
	v_or_b32_e32 v12, v14, v12
	v_or_b32_e32 v13, v15, v13
	s_cbranch_scc1 .LBB4_52
.LBB4_53:                               ;   in Loop: Header=BB4_35 Depth=1
	s_mov_b64 s[14:15], s[16:17]
	s_mov_b32 s1, 0
	s_cbranch_execz .LBB4_55
	s_branch .LBB4_56
.LBB4_54:                               ;   in Loop: Header=BB4_35 Depth=1
	s_mov_b32 s1, 0
.LBB4_55:                               ;   in Loop: Header=BB4_35 Depth=1
	global_load_dwordx2 v[12:13], v7, s[16:17]
	s_add_i32 s1, s24, -8
.LBB4_56:                               ;   in Loop: Header=BB4_35 Depth=1
	s_add_u32 s16, s14, 8
	s_addc_u32 s17, s15, 0
	s_cmp_gt_u32 s1, 7
	s_cbranch_scc1 .LBB4_61
; %bb.57:                               ;   in Loop: Header=BB4_35 Depth=1
	v_mov_b32_e32 v14, 0
	v_mov_b32_e32 v15, 0
	s_cmp_eq_u32 s1, 0
	s_cbranch_scc1 .LBB4_60
; %bb.58:                               ;   in Loop: Header=BB4_35 Depth=1
	s_mov_b64 s[16:17], 0
	s_mov_b64 s[18:19], 0
.LBB4_59:                               ;   Parent Loop BB4_35 Depth=1
                                        ; =>  This Inner Loop Header: Depth=2
	s_add_u32 s24, s14, s18
	s_addc_u32 s25, s15, s19
	s_add_u32 s18, s18, 1
	global_load_ubyte v6, v7, s[24:25]
	s_addc_u32 s19, s19, 0
	s_waitcnt vmcnt(0)
	v_and_b32_e32 v6, 0xffff, v6
	v_lshlrev_b64 v[16:17], s16, v[6:7]
	s_add_u32 s16, s16, 8
	s_addc_u32 s17, s17, 0
	s_cmp_lg_u32 s1, s18
	v_or_b32_e32 v14, v16, v14
	v_or_b32_e32 v15, v17, v15
	s_cbranch_scc1 .LBB4_59
.LBB4_60:                               ;   in Loop: Header=BB4_35 Depth=1
	s_mov_b64 s[16:17], s[14:15]
	s_mov_b32 s24, 0
	s_cbranch_execz .LBB4_62
	s_branch .LBB4_63
.LBB4_61:                               ;   in Loop: Header=BB4_35 Depth=1
                                        ; implicit-def: $vgpr14_vgpr15
	s_mov_b32 s24, 0
.LBB4_62:                               ;   in Loop: Header=BB4_35 Depth=1
	global_load_dwordx2 v[14:15], v7, s[14:15]
	s_add_i32 s24, s1, -8
.LBB4_63:                               ;   in Loop: Header=BB4_35 Depth=1
	s_add_u32 s14, s16, 8
	s_addc_u32 s15, s17, 0
	s_cmp_gt_u32 s24, 7
	s_cbranch_scc1 .LBB4_68
; %bb.64:                               ;   in Loop: Header=BB4_35 Depth=1
	v_mov_b32_e32 v16, 0
	v_mov_b32_e32 v17, 0
	s_cmp_eq_u32 s24, 0
	s_cbranch_scc1 .LBB4_67
; %bb.65:                               ;   in Loop: Header=BB4_35 Depth=1
	s_mov_b64 s[14:15], 0
	s_mov_b64 s[18:19], 0
.LBB4_66:                               ;   Parent Loop BB4_35 Depth=1
                                        ; =>  This Inner Loop Header: Depth=2
	s_add_u32 s26, s16, s18
	s_addc_u32 s27, s17, s19
	s_add_u32 s18, s18, 1
	global_load_ubyte v6, v7, s[26:27]
	s_addc_u32 s19, s19, 0
	s_waitcnt vmcnt(0)
	v_and_b32_e32 v6, 0xffff, v6
	v_lshlrev_b64 v[18:19], s14, v[6:7]
	s_add_u32 s14, s14, 8
	s_addc_u32 s15, s15, 0
	s_cmp_lg_u32 s24, s18
	v_or_b32_e32 v16, v18, v16
	v_or_b32_e32 v17, v19, v17
	s_cbranch_scc1 .LBB4_66
.LBB4_67:                               ;   in Loop: Header=BB4_35 Depth=1
	s_mov_b64 s[14:15], s[16:17]
	s_mov_b32 s1, 0
	s_cbranch_execz .LBB4_69
	s_branch .LBB4_70
.LBB4_68:                               ;   in Loop: Header=BB4_35 Depth=1
	s_mov_b32 s1, 0
.LBB4_69:                               ;   in Loop: Header=BB4_35 Depth=1
	global_load_dwordx2 v[16:17], v7, s[16:17]
	s_add_i32 s1, s24, -8
.LBB4_70:                               ;   in Loop: Header=BB4_35 Depth=1
	s_add_u32 s16, s14, 8
	s_addc_u32 s17, s15, 0
	s_cmp_gt_u32 s1, 7
	s_cbranch_scc1 .LBB4_75
; %bb.71:                               ;   in Loop: Header=BB4_35 Depth=1
	v_mov_b32_e32 v18, 0
	v_mov_b32_e32 v19, 0
	s_cmp_eq_u32 s1, 0
	s_cbranch_scc1 .LBB4_74
; %bb.72:                               ;   in Loop: Header=BB4_35 Depth=1
	s_mov_b64 s[16:17], 0
	s_mov_b64 s[18:19], 0
.LBB4_73:                               ;   Parent Loop BB4_35 Depth=1
                                        ; =>  This Inner Loop Header: Depth=2
	s_add_u32 s24, s14, s18
	s_addc_u32 s25, s15, s19
	s_add_u32 s18, s18, 1
	global_load_ubyte v6, v7, s[24:25]
	s_addc_u32 s19, s19, 0
	s_waitcnt vmcnt(0)
	v_and_b32_e32 v6, 0xffff, v6
	v_lshlrev_b64 v[20:21], s16, v[6:7]
	s_add_u32 s16, s16, 8
	s_addc_u32 s17, s17, 0
	s_cmp_lg_u32 s1, s18
	v_or_b32_e32 v18, v20, v18
	v_or_b32_e32 v19, v21, v19
	s_cbranch_scc1 .LBB4_73
.LBB4_74:                               ;   in Loop: Header=BB4_35 Depth=1
	s_mov_b64 s[16:17], s[14:15]
	s_mov_b32 s24, 0
	s_cbranch_execz .LBB4_76
	s_branch .LBB4_77
.LBB4_75:                               ;   in Loop: Header=BB4_35 Depth=1
                                        ; implicit-def: $vgpr18_vgpr19
	s_mov_b32 s24, 0
.LBB4_76:                               ;   in Loop: Header=BB4_35 Depth=1
	global_load_dwordx2 v[18:19], v7, s[14:15]
	s_add_i32 s24, s1, -8
.LBB4_77:                               ;   in Loop: Header=BB4_35 Depth=1
	s_cmp_gt_u32 s24, 7
	s_cbranch_scc1 .LBB4_82
; %bb.78:                               ;   in Loop: Header=BB4_35 Depth=1
	v_mov_b32_e32 v20, 0
	v_mov_b32_e32 v21, 0
	s_cmp_eq_u32 s24, 0
	s_cbranch_scc1 .LBB4_81
; %bb.79:                               ;   in Loop: Header=BB4_35 Depth=1
	s_mov_b64 s[14:15], 0
	s_mov_b64 s[18:19], s[16:17]
.LBB4_80:                               ;   Parent Loop BB4_35 Depth=1
                                        ; =>  This Inner Loop Header: Depth=2
	global_load_ubyte v6, v7, s[18:19]
	s_add_i32 s24, s24, -1
	s_waitcnt vmcnt(0)
	v_and_b32_e32 v6, 0xffff, v6
	v_lshlrev_b64 v[22:23], s14, v[6:7]
	s_add_u32 s14, s14, 8
	s_addc_u32 s15, s15, 0
	s_add_u32 s18, s18, 1
	s_addc_u32 s19, s19, 0
	s_cmp_lg_u32 s24, 0
	v_or_b32_e32 v20, v22, v20
	v_or_b32_e32 v21, v23, v21
	s_cbranch_scc1 .LBB4_80
.LBB4_81:                               ;   in Loop: Header=BB4_35 Depth=1
	s_cbranch_execz .LBB4_83
	s_branch .LBB4_84
.LBB4_82:                               ;   in Loop: Header=BB4_35 Depth=1
.LBB4_83:                               ;   in Loop: Header=BB4_35 Depth=1
	global_load_dwordx2 v[20:21], v7, s[16:17]
.LBB4_84:                               ;   in Loop: Header=BB4_35 Depth=1
	v_readfirstlane_b32 s1, v31
	v_mov_b32_e32 v27, 0
	v_mov_b32_e32 v28, 0
	v_cmp_eq_u32_e64 s1, s1, v31
	s_and_saveexec_b32 s14, s1
	s_cbranch_execz .LBB4_90
; %bb.85:                               ;   in Loop: Header=BB4_35 Depth=1
	global_load_dwordx2 v[24:25], v7, s[6:7] offset:24 glc dlc
	s_waitcnt vmcnt(0)
	buffer_gl1_inv
	buffer_gl0_inv
	s_clause 0x1
	global_load_dwordx2 v[22:23], v7, s[6:7] offset:40
	global_load_dwordx2 v[27:28], v7, s[6:7]
	s_mov_b32 s15, exec_lo
	s_waitcnt vmcnt(1)
	v_and_b32_e32 v6, v23, v25
	v_and_b32_e32 v22, v22, v24
	v_mul_lo_u32 v6, v6, 24
	v_mul_hi_u32 v23, v22, 24
	v_mul_lo_u32 v22, v22, 24
	v_add_nc_u32_e32 v6, v23, v6
	s_waitcnt vmcnt(0)
	v_add_co_u32 v22, vcc_lo, v27, v22
	v_add_co_ci_u32_e64 v23, null, v28, v6, vcc_lo
	global_load_dwordx2 v[22:23], v[22:23], off glc dlc
	s_waitcnt vmcnt(0)
	global_atomic_cmpswap_x2 v[27:28], v7, v[22:25], s[6:7] offset:24 glc
	s_waitcnt vmcnt(0)
	buffer_gl1_inv
	buffer_gl0_inv
	v_cmpx_ne_u64_e64 v[27:28], v[24:25]
	s_cbranch_execz .LBB4_89
; %bb.86:                               ;   in Loop: Header=BB4_35 Depth=1
	s_mov_b32 s16, 0
	.p2align	6
.LBB4_87:                               ;   Parent Loop BB4_35 Depth=1
                                        ; =>  This Inner Loop Header: Depth=2
	s_sleep 1
	s_clause 0x1
	global_load_dwordx2 v[22:23], v7, s[6:7] offset:40
	global_load_dwordx2 v[34:35], v7, s[6:7]
	v_mov_b32_e32 v24, v27
	v_mov_b32_e32 v25, v28
	s_waitcnt vmcnt(1)
	v_and_b32_e32 v6, v22, v24
	v_and_b32_e32 v22, v23, v25
	s_waitcnt vmcnt(0)
	v_mad_u64_u32 v[27:28], null, v6, 24, v[34:35]
	v_mov_b32_e32 v6, v28
	v_mad_u64_u32 v[22:23], null, v22, 24, v[6:7]
	v_mov_b32_e32 v28, v22
	global_load_dwordx2 v[22:23], v[27:28], off glc dlc
	s_waitcnt vmcnt(0)
	global_atomic_cmpswap_x2 v[27:28], v7, v[22:25], s[6:7] offset:24 glc
	s_waitcnt vmcnt(0)
	buffer_gl1_inv
	buffer_gl0_inv
	v_cmp_eq_u64_e32 vcc_lo, v[27:28], v[24:25]
	s_or_b32 s16, vcc_lo, s16
	s_andn2_b32 exec_lo, exec_lo, s16
	s_cbranch_execnz .LBB4_87
; %bb.88:                               ;   in Loop: Header=BB4_35 Depth=1
	s_or_b32 exec_lo, exec_lo, s16
.LBB4_89:                               ;   in Loop: Header=BB4_35 Depth=1
	s_or_b32 exec_lo, exec_lo, s15
.LBB4_90:                               ;   in Loop: Header=BB4_35 Depth=1
	s_or_b32 exec_lo, exec_lo, s14
	s_clause 0x1
	global_load_dwordx2 v[34:35], v7, s[6:7] offset:40
	global_load_dwordx4 v[22:25], v7, s[6:7]
	v_readfirstlane_b32 s15, v28
	v_readfirstlane_b32 s14, v27
	s_mov_b32 s18, exec_lo
	s_waitcnt vmcnt(1)
	v_readfirstlane_b32 s16, v34
	v_readfirstlane_b32 s17, v35
	s_and_b64 s[16:17], s[16:17], s[14:15]
	s_mul_i32 s19, s17, 24
	s_mul_hi_u32 s24, s16, 24
	s_mul_i32 s25, s16, 24
	s_add_i32 s24, s24, s19
	s_waitcnt vmcnt(0)
	v_add_co_u32 v27, vcc_lo, v22, s25
	v_add_co_ci_u32_e64 v28, null, s24, v23, vcc_lo
	s_and_saveexec_b32 s19, s1
	s_cbranch_execz .LBB4_92
; %bb.91:                               ;   in Loop: Header=BB4_35 Depth=1
	v_mov_b32_e32 v6, s18
	global_store_dwordx4 v[27:28], v[6:9], off offset:8
.LBB4_92:                               ;   in Loop: Header=BB4_35 Depth=1
	s_or_b32 exec_lo, exec_lo, s19
	v_cmp_lt_u64_e64 vcc_lo, s[10:11], 57
	s_lshl_b64 s[16:17], s[16:17], 12
	v_and_b32_e32 v2, 0xffffff1f, v2
	v_cndmask_b32_e32 v6, 0, v33, vcc_lo
	v_add_co_u32 v24, vcc_lo, v24, s16
	v_add_co_ci_u32_e64 v25, null, s17, v25, vcc_lo
	v_or_b32_e32 v2, v2, v6
	s_lshl_b32 s16, s12, 2
	s_add_i32 s18, s16, 28
	v_readfirstlane_b32 s16, v24
	v_readfirstlane_b32 s17, v25
	v_and_or_b32 v2, 0x1e0, s18, v2
	global_store_dwordx4 v30, v[10:13], s[16:17] offset:16
	global_store_dwordx4 v30, v[2:5], s[16:17]
	global_store_dwordx4 v30, v[14:17], s[16:17] offset:32
	global_store_dwordx4 v30, v[18:21], s[16:17] offset:48
	s_and_saveexec_b32 s16, s1
	s_cbranch_execz .LBB4_100
; %bb.93:                               ;   in Loop: Header=BB4_35 Depth=1
	s_clause 0x1
	global_load_dwordx2 v[14:15], v7, s[6:7] offset:32 glc dlc
	global_load_dwordx2 v[2:3], v7, s[6:7] offset:40
	v_mov_b32_e32 v12, s14
	v_mov_b32_e32 v13, s15
	s_waitcnt vmcnt(0)
	v_readfirstlane_b32 s18, v2
	v_readfirstlane_b32 s19, v3
	s_and_b64 s[18:19], s[18:19], s[14:15]
	s_mul_i32 s17, s19, 24
	s_mul_hi_u32 s19, s18, 24
	s_mul_i32 s18, s18, 24
	s_add_i32 s19, s19, s17
	v_add_co_u32 v10, vcc_lo, v22, s18
	v_add_co_ci_u32_e64 v11, null, s19, v23, vcc_lo
	s_mov_b32 s17, exec_lo
	global_store_dwordx2 v[10:11], v[14:15], off
	s_waitcnt_vscnt null, 0x0
	global_atomic_cmpswap_x2 v[4:5], v7, v[12:15], s[6:7] offset:32 glc
	s_waitcnt vmcnt(0)
	v_cmpx_ne_u64_e64 v[4:5], v[14:15]
	s_cbranch_execz .LBB4_96
; %bb.94:                               ;   in Loop: Header=BB4_35 Depth=1
	s_mov_b32 s18, 0
.LBB4_95:                               ;   Parent Loop BB4_35 Depth=1
                                        ; =>  This Inner Loop Header: Depth=2
	v_mov_b32_e32 v2, s14
	v_mov_b32_e32 v3, s15
	s_sleep 1
	global_store_dwordx2 v[10:11], v[4:5], off
	s_waitcnt_vscnt null, 0x0
	global_atomic_cmpswap_x2 v[2:3], v7, v[2:5], s[6:7] offset:32 glc
	s_waitcnt vmcnt(0)
	v_cmp_eq_u64_e32 vcc_lo, v[2:3], v[4:5]
	v_mov_b32_e32 v5, v3
	v_mov_b32_e32 v4, v2
	s_or_b32 s18, vcc_lo, s18
	s_andn2_b32 exec_lo, exec_lo, s18
	s_cbranch_execnz .LBB4_95
.LBB4_96:                               ;   in Loop: Header=BB4_35 Depth=1
	s_or_b32 exec_lo, exec_lo, s17
	global_load_dwordx2 v[2:3], v7, s[6:7] offset:16
	s_mov_b32 s18, exec_lo
	s_mov_b32 s17, exec_lo
	v_mbcnt_lo_u32_b32 v4, s18, 0
	v_cmpx_eq_u32_e32 0, v4
	s_cbranch_execz .LBB4_98
; %bb.97:                               ;   in Loop: Header=BB4_35 Depth=1
	s_bcnt1_i32_b32 s18, s18
	v_mov_b32_e32 v6, s18
	s_waitcnt vmcnt(0)
	global_atomic_add_x2 v[2:3], v[6:7], off offset:8
.LBB4_98:                               ;   in Loop: Header=BB4_35 Depth=1
	s_or_b32 exec_lo, exec_lo, s17
	s_waitcnt vmcnt(0)
	global_load_dwordx2 v[4:5], v[2:3], off offset:16
	s_waitcnt vmcnt(0)
	v_cmp_eq_u64_e32 vcc_lo, 0, v[4:5]
	s_cbranch_vccnz .LBB4_100
; %bb.99:                               ;   in Loop: Header=BB4_35 Depth=1
	global_load_dword v6, v[2:3], off offset:24
	s_waitcnt vmcnt(0)
	v_readfirstlane_b32 s17, v6
	s_waitcnt_vscnt null, 0x0
	global_store_dwordx2 v[4:5], v[6:7], off
	s_and_b32 m0, s17, 0x7fffff
	s_sendmsg sendmsg(MSG_INTERRUPT)
.LBB4_100:                              ;   in Loop: Header=BB4_35 Depth=1
	s_or_b32 exec_lo, exec_lo, s16
	v_add_co_u32 v2, vcc_lo, v24, v30
	v_add_co_ci_u32_e64 v3, null, 0, v25, vcc_lo
	s_branch .LBB4_104
	.p2align	6
.LBB4_101:                              ;   in Loop: Header=BB4_104 Depth=2
	s_or_b32 exec_lo, exec_lo, s16
	v_readfirstlane_b32 s16, v4
	s_cmp_eq_u32 s16, 0
	s_cbranch_scc1 .LBB4_103
; %bb.102:                              ;   in Loop: Header=BB4_104 Depth=2
	s_sleep 1
	s_cbranch_execnz .LBB4_104
	s_branch .LBB4_106
	.p2align	6
.LBB4_103:                              ;   in Loop: Header=BB4_35 Depth=1
	s_branch .LBB4_106
.LBB4_104:                              ;   Parent Loop BB4_35 Depth=1
                                        ; =>  This Inner Loop Header: Depth=2
	v_mov_b32_e32 v4, 1
	s_and_saveexec_b32 s16, s1
	s_cbranch_execz .LBB4_101
; %bb.105:                              ;   in Loop: Header=BB4_104 Depth=2
	global_load_dword v4, v[27:28], off offset:20 glc dlc
	s_waitcnt vmcnt(0)
	buffer_gl1_inv
	buffer_gl0_inv
	v_and_b32_e32 v4, 1, v4
	s_branch .LBB4_101
.LBB4_106:                              ;   in Loop: Header=BB4_35 Depth=1
	global_load_dwordx2 v[2:3], v[2:3], off
	s_and_saveexec_b32 s16, s1
	s_cbranch_execz .LBB4_34
; %bb.107:                              ;   in Loop: Header=BB4_35 Depth=1
	s_clause 0x2
	global_load_dwordx2 v[4:5], v7, s[6:7] offset:40
	global_load_dwordx2 v[14:15], v7, s[6:7] offset:24 glc dlc
	global_load_dwordx2 v[10:11], v7, s[6:7]
	s_waitcnt vmcnt(2)
	v_readfirstlane_b32 s18, v4
	v_readfirstlane_b32 s19, v5
	s_add_u32 s1, s18, 1
	s_addc_u32 s17, s19, 0
	s_add_u32 s14, s1, s14
	s_addc_u32 s15, s17, s15
	s_cmp_eq_u64 s[14:15], 0
	s_cselect_b32 s15, s17, s15
	s_cselect_b32 s14, s1, s14
	v_mov_b32_e32 v13, s15
	s_and_b64 s[18:19], s[14:15], s[18:19]
	v_mov_b32_e32 v12, s14
	s_mul_i32 s1, s19, 24
	s_mul_hi_u32 s17, s18, 24
	s_mul_i32 s18, s18, 24
	s_add_i32 s17, s17, s1
	s_waitcnt vmcnt(0)
	v_add_co_u32 v4, vcc_lo, v10, s18
	v_add_co_ci_u32_e64 v5, null, s17, v11, vcc_lo
	global_store_dwordx2 v[4:5], v[14:15], off
	s_waitcnt_vscnt null, 0x0
	global_atomic_cmpswap_x2 v[12:13], v7, v[12:15], s[6:7] offset:24 glc
	s_waitcnt vmcnt(0)
	v_cmp_ne_u64_e32 vcc_lo, v[12:13], v[14:15]
	s_and_b32 exec_lo, exec_lo, vcc_lo
	s_cbranch_execz .LBB4_34
; %bb.108:                              ;   in Loop: Header=BB4_35 Depth=1
	s_mov_b32 s1, 0
.LBB4_109:                              ;   Parent Loop BB4_35 Depth=1
                                        ; =>  This Inner Loop Header: Depth=2
	v_mov_b32_e32 v10, s14
	v_mov_b32_e32 v11, s15
	s_sleep 1
	global_store_dwordx2 v[4:5], v[12:13], off
	s_waitcnt_vscnt null, 0x0
	global_atomic_cmpswap_x2 v[10:11], v7, v[10:13], s[6:7] offset:24 glc
	s_waitcnt vmcnt(0)
	v_cmp_eq_u64_e32 vcc_lo, v[10:11], v[12:13]
	v_mov_b32_e32 v13, v11
	v_mov_b32_e32 v12, v10
	s_or_b32 s1, vcc_lo, s1
	s_andn2_b32 exec_lo, exec_lo, s1
	s_cbranch_execnz .LBB4_109
	s_branch .LBB4_34
.LBB4_110:
	s_branch .LBB4_139
.LBB4_111:
                                        ; implicit-def: $vgpr2_vgpr3
	s_cbranch_execz .LBB4_139
; %bb.112:
	v_readfirstlane_b32 s1, v31
	v_mov_b32_e32 v8, 0
	v_mov_b32_e32 v9, 0
	v_cmp_eq_u32_e64 s1, s1, v31
	s_and_saveexec_b32 s8, s1
	s_cbranch_execz .LBB4_118
; %bb.113:
	s_waitcnt vmcnt(0)
	v_mov_b32_e32 v2, 0
	s_mov_b32 s9, exec_lo
	global_load_dwordx2 v[5:6], v2, s[6:7] offset:24 glc dlc
	s_waitcnt vmcnt(0)
	buffer_gl1_inv
	buffer_gl0_inv
	s_clause 0x1
	global_load_dwordx2 v[3:4], v2, s[6:7] offset:40
	global_load_dwordx2 v[7:8], v2, s[6:7]
	s_waitcnt vmcnt(1)
	v_and_b32_e32 v4, v4, v6
	v_and_b32_e32 v3, v3, v5
	v_mul_lo_u32 v4, v4, 24
	v_mul_hi_u32 v9, v3, 24
	v_mul_lo_u32 v3, v3, 24
	v_add_nc_u32_e32 v4, v9, v4
	s_waitcnt vmcnt(0)
	v_add_co_u32 v3, vcc_lo, v7, v3
	v_add_co_ci_u32_e64 v4, null, v8, v4, vcc_lo
	global_load_dwordx2 v[3:4], v[3:4], off glc dlc
	s_waitcnt vmcnt(0)
	global_atomic_cmpswap_x2 v[8:9], v2, v[3:6], s[6:7] offset:24 glc
	s_waitcnt vmcnt(0)
	buffer_gl1_inv
	buffer_gl0_inv
	v_cmpx_ne_u64_e64 v[8:9], v[5:6]
	s_cbranch_execz .LBB4_117
; %bb.114:
	s_mov_b32 s10, 0
	.p2align	6
.LBB4_115:                              ; =>This Inner Loop Header: Depth=1
	s_sleep 1
	s_clause 0x1
	global_load_dwordx2 v[3:4], v2, s[6:7] offset:40
	global_load_dwordx2 v[10:11], v2, s[6:7]
	v_mov_b32_e32 v5, v8
	v_mov_b32_e32 v6, v9
	s_waitcnt vmcnt(1)
	v_and_b32_e32 v3, v3, v5
	v_and_b32_e32 v4, v4, v6
	s_waitcnt vmcnt(0)
	v_mad_u64_u32 v[7:8], null, v3, 24, v[10:11]
	v_mov_b32_e32 v3, v8
	v_mad_u64_u32 v[3:4], null, v4, 24, v[3:4]
	v_mov_b32_e32 v8, v3
	global_load_dwordx2 v[3:4], v[7:8], off glc dlc
	s_waitcnt vmcnt(0)
	global_atomic_cmpswap_x2 v[8:9], v2, v[3:6], s[6:7] offset:24 glc
	s_waitcnt vmcnt(0)
	buffer_gl1_inv
	buffer_gl0_inv
	v_cmp_eq_u64_e32 vcc_lo, v[8:9], v[5:6]
	s_or_b32 s10, vcc_lo, s10
	s_andn2_b32 exec_lo, exec_lo, s10
	s_cbranch_execnz .LBB4_115
; %bb.116:
	s_or_b32 exec_lo, exec_lo, s10
.LBB4_117:
	s_or_b32 exec_lo, exec_lo, s9
.LBB4_118:
	s_or_b32 exec_lo, exec_lo, s8
	s_waitcnt vmcnt(0)
	v_mov_b32_e32 v2, 0
	v_readfirstlane_b32 s9, v9
	v_readfirstlane_b32 s8, v8
	s_mov_b32 s12, exec_lo
	s_clause 0x1
	global_load_dwordx2 v[10:11], v2, s[6:7] offset:40
	global_load_dwordx4 v[4:7], v2, s[6:7]
	s_waitcnt vmcnt(1)
	v_readfirstlane_b32 s10, v10
	v_readfirstlane_b32 s11, v11
	s_and_b64 s[10:11], s[10:11], s[8:9]
	s_mul_i32 s13, s11, 24
	s_mul_hi_u32 s14, s10, 24
	s_mul_i32 s15, s10, 24
	s_add_i32 s14, s14, s13
	s_waitcnt vmcnt(0)
	v_add_co_u32 v8, vcc_lo, v4, s15
	v_add_co_ci_u32_e64 v9, null, s14, v5, vcc_lo
	s_and_saveexec_b32 s13, s1
	s_cbranch_execz .LBB4_120
; %bb.119:
	v_mov_b32_e32 v10, s12
	v_mov_b32_e32 v11, v2
	v_mov_b32_e32 v12, 2
	v_mov_b32_e32 v13, 1
	global_store_dwordx4 v[8:9], v[10:13], off offset:8
.LBB4_120:
	s_or_b32 exec_lo, exec_lo, s13
	s_lshl_b64 s[10:11], s[10:11], 12
	s_mov_b32 s12, 0
	v_add_co_u32 v6, vcc_lo, v6, s10
	v_add_co_ci_u32_e64 v7, null, s11, v7, vcc_lo
	s_mov_b32 s13, s12
	v_readfirstlane_b32 s10, v6
	v_add_co_u32 v6, vcc_lo, v6, v30
	s_mov_b32 s14, s12
	s_mov_b32 s15, s12
	v_and_or_b32 v0, 0xffffff1f, v0, 32
	v_mov_b32_e32 v3, v2
	v_readfirstlane_b32 s11, v7
	v_mov_b32_e32 v10, s12
	v_add_co_ci_u32_e64 v7, null, 0, v7, vcc_lo
	v_mov_b32_e32 v11, s13
	v_mov_b32_e32 v12, s14
	;; [unrolled: 1-line block ×3, first 2 shown]
	global_store_dwordx4 v30, v[0:3], s[10:11]
	global_store_dwordx4 v30, v[10:13], s[10:11] offset:16
	global_store_dwordx4 v30, v[10:13], s[10:11] offset:32
	global_store_dwordx4 v30, v[10:13], s[10:11] offset:48
	s_and_saveexec_b32 s10, s1
	s_cbranch_execz .LBB4_128
; %bb.121:
	v_mov_b32_e32 v10, 0
	v_mov_b32_e32 v11, s8
	;; [unrolled: 1-line block ×3, first 2 shown]
	s_clause 0x1
	global_load_dwordx2 v[13:14], v10, s[6:7] offset:32 glc dlc
	global_load_dwordx2 v[0:1], v10, s[6:7] offset:40
	s_waitcnt vmcnt(0)
	v_readfirstlane_b32 s12, v0
	v_readfirstlane_b32 s13, v1
	s_and_b64 s[12:13], s[12:13], s[8:9]
	s_mul_i32 s11, s13, 24
	s_mul_hi_u32 s13, s12, 24
	s_mul_i32 s12, s12, 24
	s_add_i32 s13, s13, s11
	v_add_co_u32 v4, vcc_lo, v4, s12
	v_add_co_ci_u32_e64 v5, null, s13, v5, vcc_lo
	s_mov_b32 s11, exec_lo
	global_store_dwordx2 v[4:5], v[13:14], off
	s_waitcnt_vscnt null, 0x0
	global_atomic_cmpswap_x2 v[2:3], v10, v[11:14], s[6:7] offset:32 glc
	s_waitcnt vmcnt(0)
	v_cmpx_ne_u64_e64 v[2:3], v[13:14]
	s_cbranch_execz .LBB4_124
; %bb.122:
	s_mov_b32 s12, 0
.LBB4_123:                              ; =>This Inner Loop Header: Depth=1
	v_mov_b32_e32 v0, s8
	v_mov_b32_e32 v1, s9
	s_sleep 1
	global_store_dwordx2 v[4:5], v[2:3], off
	s_waitcnt_vscnt null, 0x0
	global_atomic_cmpswap_x2 v[0:1], v10, v[0:3], s[6:7] offset:32 glc
	s_waitcnt vmcnt(0)
	v_cmp_eq_u64_e32 vcc_lo, v[0:1], v[2:3]
	v_mov_b32_e32 v3, v1
	v_mov_b32_e32 v2, v0
	s_or_b32 s12, vcc_lo, s12
	s_andn2_b32 exec_lo, exec_lo, s12
	s_cbranch_execnz .LBB4_123
.LBB4_124:
	s_or_b32 exec_lo, exec_lo, s11
	v_mov_b32_e32 v3, 0
	s_mov_b32 s12, exec_lo
	s_mov_b32 s11, exec_lo
	v_mbcnt_lo_u32_b32 v2, s12, 0
	global_load_dwordx2 v[0:1], v3, s[6:7] offset:16
	v_cmpx_eq_u32_e32 0, v2
	s_cbranch_execz .LBB4_126
; %bb.125:
	s_bcnt1_i32_b32 s12, s12
	v_mov_b32_e32 v2, s12
	s_waitcnt vmcnt(0)
	global_atomic_add_x2 v[0:1], v[2:3], off offset:8
.LBB4_126:
	s_or_b32 exec_lo, exec_lo, s11
	s_waitcnt vmcnt(0)
	global_load_dwordx2 v[2:3], v[0:1], off offset:16
	s_waitcnt vmcnt(0)
	v_cmp_eq_u64_e32 vcc_lo, 0, v[2:3]
	s_cbranch_vccnz .LBB4_128
; %bb.127:
	global_load_dword v0, v[0:1], off offset:24
	v_mov_b32_e32 v1, 0
	s_waitcnt vmcnt(0)
	v_readfirstlane_b32 s11, v0
	s_waitcnt_vscnt null, 0x0
	global_store_dwordx2 v[2:3], v[0:1], off
	s_and_b32 m0, s11, 0x7fffff
	s_sendmsg sendmsg(MSG_INTERRUPT)
.LBB4_128:
	s_or_b32 exec_lo, exec_lo, s10
	s_branch .LBB4_132
	.p2align	6
.LBB4_129:                              ;   in Loop: Header=BB4_132 Depth=1
	s_or_b32 exec_lo, exec_lo, s10
	v_readfirstlane_b32 s10, v0
	s_cmp_eq_u32 s10, 0
	s_cbranch_scc1 .LBB4_131
; %bb.130:                              ;   in Loop: Header=BB4_132 Depth=1
	s_sleep 1
	s_cbranch_execnz .LBB4_132
	s_branch .LBB4_134
	.p2align	6
.LBB4_131:
	s_branch .LBB4_134
.LBB4_132:                              ; =>This Inner Loop Header: Depth=1
	v_mov_b32_e32 v0, 1
	s_and_saveexec_b32 s10, s1
	s_cbranch_execz .LBB4_129
; %bb.133:                              ;   in Loop: Header=BB4_132 Depth=1
	global_load_dword v0, v[8:9], off offset:20 glc dlc
	s_waitcnt vmcnt(0)
	buffer_gl1_inv
	buffer_gl0_inv
	v_and_b32_e32 v0, 1, v0
	s_branch .LBB4_129
.LBB4_134:
	global_load_dwordx2 v[2:3], v[6:7], off
	s_and_saveexec_b32 s10, s1
	s_cbranch_execz .LBB4_138
; %bb.135:
	v_mov_b32_e32 v8, 0
	s_clause 0x2
	global_load_dwordx2 v[0:1], v8, s[6:7] offset:40
	global_load_dwordx2 v[11:12], v8, s[6:7] offset:24 glc dlc
	global_load_dwordx2 v[4:5], v8, s[6:7]
	s_waitcnt vmcnt(2)
	v_readfirstlane_b32 s12, v0
	v_readfirstlane_b32 s13, v1
	s_add_u32 s1, s12, 1
	s_addc_u32 s11, s13, 0
	s_add_u32 s8, s1, s8
	s_addc_u32 s9, s11, s9
	s_cmp_eq_u64 s[8:9], 0
	s_cselect_b32 s9, s11, s9
	s_cselect_b32 s8, s1, s8
	v_mov_b32_e32 v10, s9
	s_and_b64 s[12:13], s[8:9], s[12:13]
	v_mov_b32_e32 v9, s8
	s_mul_i32 s1, s13, 24
	s_mul_hi_u32 s11, s12, 24
	s_mul_i32 s12, s12, 24
	s_add_i32 s11, s11, s1
	s_waitcnt vmcnt(0)
	v_add_co_u32 v0, vcc_lo, v4, s12
	v_add_co_ci_u32_e64 v1, null, s11, v5, vcc_lo
	global_store_dwordx2 v[0:1], v[11:12], off
	s_waitcnt_vscnt null, 0x0
	global_atomic_cmpswap_x2 v[6:7], v8, v[9:12], s[6:7] offset:24 glc
	s_waitcnt vmcnt(0)
	v_cmp_ne_u64_e32 vcc_lo, v[6:7], v[11:12]
	s_and_b32 exec_lo, exec_lo, vcc_lo
	s_cbranch_execz .LBB4_138
; %bb.136:
	s_mov_b32 s1, 0
.LBB4_137:                              ; =>This Inner Loop Header: Depth=1
	v_mov_b32_e32 v4, s8
	v_mov_b32_e32 v5, s9
	s_sleep 1
	global_store_dwordx2 v[0:1], v[6:7], off
	s_waitcnt_vscnt null, 0x0
	global_atomic_cmpswap_x2 v[4:5], v8, v[4:7], s[6:7] offset:24 glc
	s_waitcnt vmcnt(0)
	v_cmp_eq_u64_e32 vcc_lo, v[4:5], v[6:7]
	v_mov_b32_e32 v7, v5
	v_mov_b32_e32 v6, v4
	s_or_b32 s1, vcc_lo, s1
	s_andn2_b32 exec_lo, exec_lo, s1
	s_cbranch_execnz .LBB4_137
.LBB4_138:
	s_or_b32 exec_lo, exec_lo, s10
.LBB4_139:
	v_readfirstlane_b32 s1, v31
	s_waitcnt vmcnt(0)
	v_mov_b32_e32 v0, 0
	v_mov_b32_e32 v1, 0
	v_cmp_eq_u32_e64 s1, s1, v31
	s_and_saveexec_b32 s8, s1
	s_cbranch_execz .LBB4_145
; %bb.140:
	v_mov_b32_e32 v4, 0
	s_mov_b32 s9, exec_lo
	global_load_dwordx2 v[7:8], v4, s[6:7] offset:24 glc dlc
	s_waitcnt vmcnt(0)
	buffer_gl1_inv
	buffer_gl0_inv
	s_clause 0x1
	global_load_dwordx2 v[0:1], v4, s[6:7] offset:40
	global_load_dwordx2 v[5:6], v4, s[6:7]
	s_waitcnt vmcnt(1)
	v_and_b32_e32 v1, v1, v8
	v_and_b32_e32 v0, v0, v7
	v_mul_lo_u32 v1, v1, 24
	v_mul_hi_u32 v9, v0, 24
	v_mul_lo_u32 v0, v0, 24
	v_add_nc_u32_e32 v1, v9, v1
	s_waitcnt vmcnt(0)
	v_add_co_u32 v0, vcc_lo, v5, v0
	v_add_co_ci_u32_e64 v1, null, v6, v1, vcc_lo
	global_load_dwordx2 v[5:6], v[0:1], off glc dlc
	s_waitcnt vmcnt(0)
	global_atomic_cmpswap_x2 v[0:1], v4, v[5:8], s[6:7] offset:24 glc
	s_waitcnt vmcnt(0)
	buffer_gl1_inv
	buffer_gl0_inv
	v_cmpx_ne_u64_e64 v[0:1], v[7:8]
	s_cbranch_execz .LBB4_144
; %bb.141:
	s_mov_b32 s10, 0
	.p2align	6
.LBB4_142:                              ; =>This Inner Loop Header: Depth=1
	s_sleep 1
	s_clause 0x1
	global_load_dwordx2 v[5:6], v4, s[6:7] offset:40
	global_load_dwordx2 v[9:10], v4, s[6:7]
	v_mov_b32_e32 v8, v1
	v_mov_b32_e32 v7, v0
	s_waitcnt vmcnt(1)
	v_and_b32_e32 v0, v5, v7
	v_and_b32_e32 v5, v6, v8
	s_waitcnt vmcnt(0)
	v_mad_u64_u32 v[0:1], null, v0, 24, v[9:10]
	v_mad_u64_u32 v[5:6], null, v5, 24, v[1:2]
	v_mov_b32_e32 v1, v5
	global_load_dwordx2 v[5:6], v[0:1], off glc dlc
	s_waitcnt vmcnt(0)
	global_atomic_cmpswap_x2 v[0:1], v4, v[5:8], s[6:7] offset:24 glc
	s_waitcnt vmcnt(0)
	buffer_gl1_inv
	buffer_gl0_inv
	v_cmp_eq_u64_e32 vcc_lo, v[0:1], v[7:8]
	s_or_b32 s10, vcc_lo, s10
	s_andn2_b32 exec_lo, exec_lo, s10
	s_cbranch_execnz .LBB4_142
; %bb.143:
	s_or_b32 exec_lo, exec_lo, s10
.LBB4_144:
	s_or_b32 exec_lo, exec_lo, s9
.LBB4_145:
	s_or_b32 exec_lo, exec_lo, s8
	v_mov_b32_e32 v5, 0
	v_readfirstlane_b32 s9, v1
	v_readfirstlane_b32 s8, v0
	s_mov_b32 s12, exec_lo
	s_clause 0x1
	global_load_dwordx2 v[10:11], v5, s[6:7] offset:40
	global_load_dwordx4 v[6:9], v5, s[6:7]
	s_waitcnt vmcnt(1)
	v_readfirstlane_b32 s10, v10
	v_readfirstlane_b32 s11, v11
	s_and_b64 s[10:11], s[10:11], s[8:9]
	s_mul_i32 s13, s11, 24
	s_mul_hi_u32 s14, s10, 24
	s_mul_i32 s15, s10, 24
	s_add_i32 s14, s14, s13
	s_waitcnt vmcnt(0)
	v_add_co_u32 v10, vcc_lo, v6, s15
	v_add_co_ci_u32_e64 v11, null, s14, v7, vcc_lo
	s_and_saveexec_b32 s13, s1
	s_cbranch_execz .LBB4_147
; %bb.146:
	v_mov_b32_e32 v4, s12
	v_mov_b32_e32 v13, v5
	;; [unrolled: 1-line block ×5, first 2 shown]
	global_store_dwordx4 v[10:11], v[12:15], off offset:8
.LBB4_147:
	s_or_b32 exec_lo, exec_lo, s13
	s_lshl_b64 s[10:11], s[10:11], 12
	s_mov_b32 s16, 0
	v_add_co_u32 v0, vcc_lo, v8, s10
	v_add_co_ci_u32_e64 v1, null, s11, v9, vcc_lo
	s_add_i32 s12, s20, -1
	v_add_co_u32 v8, vcc_lo, v0, v30
	s_mov_b32 s17, s16
	s_mov_b32 s18, s16
	;; [unrolled: 1-line block ×3, first 2 shown]
	v_and_or_b32 v2, 0xffffff1f, v2, 32
	v_mov_b32_e32 v4, s12
	v_readfirstlane_b32 s10, v0
	v_readfirstlane_b32 s11, v1
	v_mov_b32_e32 v12, s16
	v_add_co_ci_u32_e64 v9, null, 0, v1, vcc_lo
	v_mov_b32_e32 v13, s17
	v_mov_b32_e32 v14, s18
	v_mov_b32_e32 v15, s19
	global_store_dwordx4 v30, v[2:5], s[10:11]
	global_store_dwordx4 v30, v[12:15], s[10:11] offset:16
	global_store_dwordx4 v30, v[12:15], s[10:11] offset:32
	;; [unrolled: 1-line block ×3, first 2 shown]
	s_and_saveexec_b32 s10, s1
	s_cbranch_execz .LBB4_155
; %bb.148:
	v_mov_b32_e32 v12, 0
	v_mov_b32_e32 v13, s8
	;; [unrolled: 1-line block ×3, first 2 shown]
	s_clause 0x1
	global_load_dwordx2 v[15:16], v12, s[6:7] offset:32 glc dlc
	global_load_dwordx2 v[0:1], v12, s[6:7] offset:40
	s_waitcnt vmcnt(0)
	v_readfirstlane_b32 s14, v0
	v_readfirstlane_b32 s15, v1
	s_and_b64 s[14:15], s[14:15], s[8:9]
	s_mul_i32 s11, s15, 24
	s_mul_hi_u32 s13, s14, 24
	s_mul_i32 s14, s14, 24
	s_add_i32 s13, s13, s11
	v_add_co_u32 v4, vcc_lo, v6, s14
	v_add_co_ci_u32_e64 v5, null, s13, v7, vcc_lo
	s_mov_b32 s11, exec_lo
	global_store_dwordx2 v[4:5], v[15:16], off
	s_waitcnt_vscnt null, 0x0
	global_atomic_cmpswap_x2 v[2:3], v12, v[13:16], s[6:7] offset:32 glc
	s_waitcnt vmcnt(0)
	v_cmpx_ne_u64_e64 v[2:3], v[15:16]
	s_cbranch_execz .LBB4_151
; %bb.149:
	s_mov_b32 s13, 0
.LBB4_150:                              ; =>This Inner Loop Header: Depth=1
	v_mov_b32_e32 v0, s8
	v_mov_b32_e32 v1, s9
	s_sleep 1
	global_store_dwordx2 v[4:5], v[2:3], off
	s_waitcnt_vscnt null, 0x0
	global_atomic_cmpswap_x2 v[0:1], v12, v[0:3], s[6:7] offset:32 glc
	s_waitcnt vmcnt(0)
	v_cmp_eq_u64_e32 vcc_lo, v[0:1], v[2:3]
	v_mov_b32_e32 v3, v1
	v_mov_b32_e32 v2, v0
	s_or_b32 s13, vcc_lo, s13
	s_andn2_b32 exec_lo, exec_lo, s13
	s_cbranch_execnz .LBB4_150
.LBB4_151:
	s_or_b32 exec_lo, exec_lo, s11
	v_mov_b32_e32 v3, 0
	s_mov_b32 s13, exec_lo
	s_mov_b32 s11, exec_lo
	v_mbcnt_lo_u32_b32 v2, s13, 0
	global_load_dwordx2 v[0:1], v3, s[6:7] offset:16
	v_cmpx_eq_u32_e32 0, v2
	s_cbranch_execz .LBB4_153
; %bb.152:
	s_bcnt1_i32_b32 s13, s13
	v_mov_b32_e32 v2, s13
	s_waitcnt vmcnt(0)
	global_atomic_add_x2 v[0:1], v[2:3], off offset:8
.LBB4_153:
	s_or_b32 exec_lo, exec_lo, s11
	s_waitcnt vmcnt(0)
	global_load_dwordx2 v[2:3], v[0:1], off offset:16
	s_waitcnt vmcnt(0)
	v_cmp_eq_u64_e32 vcc_lo, 0, v[2:3]
	s_cbranch_vccnz .LBB4_155
; %bb.154:
	global_load_dword v0, v[0:1], off offset:24
	v_mov_b32_e32 v1, 0
	s_waitcnt vmcnt(0)
	v_readfirstlane_b32 s11, v0
	s_waitcnt_vscnt null, 0x0
	global_store_dwordx2 v[2:3], v[0:1], off
	s_and_b32 m0, s11, 0x7fffff
	s_sendmsg sendmsg(MSG_INTERRUPT)
.LBB4_155:
	s_or_b32 exec_lo, exec_lo, s10
	s_branch .LBB4_159
	.p2align	6
.LBB4_156:                              ;   in Loop: Header=BB4_159 Depth=1
	s_or_b32 exec_lo, exec_lo, s10
	v_readfirstlane_b32 s10, v0
	s_cmp_eq_u32 s10, 0
	s_cbranch_scc1 .LBB4_158
; %bb.157:                              ;   in Loop: Header=BB4_159 Depth=1
	s_sleep 1
	s_cbranch_execnz .LBB4_159
	s_branch .LBB4_161
	.p2align	6
.LBB4_158:
	s_branch .LBB4_161
.LBB4_159:                              ; =>This Inner Loop Header: Depth=1
	v_mov_b32_e32 v0, 1
	s_and_saveexec_b32 s10, s1
	s_cbranch_execz .LBB4_156
; %bb.160:                              ;   in Loop: Header=BB4_159 Depth=1
	global_load_dword v0, v[10:11], off offset:20 glc dlc
	s_waitcnt vmcnt(0)
	buffer_gl1_inv
	buffer_gl0_inv
	v_and_b32_e32 v0, 1, v0
	s_branch .LBB4_156
.LBB4_161:
	global_load_dwordx2 v[0:1], v[8:9], off
	s_and_saveexec_b32 s10, s1
	s_cbranch_execz .LBB4_165
; %bb.162:
	v_mov_b32_e32 v8, 0
	s_clause 0x2
	global_load_dwordx2 v[2:3], v8, s[6:7] offset:40
	global_load_dwordx2 v[11:12], v8, s[6:7] offset:24 glc dlc
	global_load_dwordx2 v[4:5], v8, s[6:7]
	s_waitcnt vmcnt(2)
	v_readfirstlane_b32 s14, v2
	v_readfirstlane_b32 s15, v3
	s_add_u32 s1, s14, 1
	s_addc_u32 s11, s15, 0
	s_add_u32 s8, s1, s8
	s_addc_u32 s9, s11, s9
	s_cmp_eq_u64 s[8:9], 0
	s_cselect_b32 s9, s11, s9
	s_cselect_b32 s8, s1, s8
	v_mov_b32_e32 v10, s9
	s_and_b64 s[14:15], s[8:9], s[14:15]
	v_mov_b32_e32 v9, s8
	s_mul_i32 s1, s15, 24
	s_mul_hi_u32 s11, s14, 24
	s_mul_i32 s13, s14, 24
	s_add_i32 s11, s11, s1
	s_waitcnt vmcnt(0)
	v_add_co_u32 v6, vcc_lo, v4, s13
	v_add_co_ci_u32_e64 v7, null, s11, v5, vcc_lo
	global_store_dwordx2 v[6:7], v[11:12], off
	s_waitcnt_vscnt null, 0x0
	global_atomic_cmpswap_x2 v[4:5], v8, v[9:12], s[6:7] offset:24 glc
	s_waitcnt vmcnt(0)
	v_cmp_ne_u64_e32 vcc_lo, v[4:5], v[11:12]
	s_and_b32 exec_lo, exec_lo, vcc_lo
	s_cbranch_execz .LBB4_165
; %bb.163:
	s_mov_b32 s1, 0
.LBB4_164:                              ; =>This Inner Loop Header: Depth=1
	v_mov_b32_e32 v2, s8
	v_mov_b32_e32 v3, s9
	s_sleep 1
	global_store_dwordx2 v[6:7], v[4:5], off
	s_waitcnt_vscnt null, 0x0
	global_atomic_cmpswap_x2 v[2:3], v8, v[2:5], s[6:7] offset:24 glc
	s_waitcnt vmcnt(0)
	v_cmp_eq_u64_e32 vcc_lo, v[2:3], v[4:5]
	v_mov_b32_e32 v5, v3
	v_mov_b32_e32 v4, v2
	s_or_b32 s1, vcc_lo, s1
	s_andn2_b32 exec_lo, exec_lo, s1
	s_cbranch_execnz .LBB4_164
.LBB4_165:
	s_or_b32 exec_lo, exec_lo, s10
	v_readfirstlane_b32 s1, v31
	v_mov_b32_e32 v8, 0
	v_mov_b32_e32 v9, 0
	v_cmp_eq_u32_e64 s1, s1, v31
	s_and_saveexec_b32 s8, s1
	s_cbranch_execz .LBB4_171
; %bb.166:
	v_mov_b32_e32 v2, 0
	s_mov_b32 s9, exec_lo
	global_load_dwordx2 v[5:6], v2, s[6:7] offset:24 glc dlc
	s_waitcnt vmcnt(0)
	buffer_gl1_inv
	buffer_gl0_inv
	s_clause 0x1
	global_load_dwordx2 v[3:4], v2, s[6:7] offset:40
	global_load_dwordx2 v[7:8], v2, s[6:7]
	s_waitcnt vmcnt(1)
	v_and_b32_e32 v4, v4, v6
	v_and_b32_e32 v3, v3, v5
	v_mul_lo_u32 v4, v4, 24
	v_mul_hi_u32 v9, v3, 24
	v_mul_lo_u32 v3, v3, 24
	v_add_nc_u32_e32 v4, v9, v4
	s_waitcnt vmcnt(0)
	v_add_co_u32 v3, vcc_lo, v7, v3
	v_add_co_ci_u32_e64 v4, null, v8, v4, vcc_lo
	global_load_dwordx2 v[3:4], v[3:4], off glc dlc
	s_waitcnt vmcnt(0)
	global_atomic_cmpswap_x2 v[8:9], v2, v[3:6], s[6:7] offset:24 glc
	s_waitcnt vmcnt(0)
	buffer_gl1_inv
	buffer_gl0_inv
	v_cmpx_ne_u64_e64 v[8:9], v[5:6]
	s_cbranch_execz .LBB4_170
; %bb.167:
	s_mov_b32 s10, 0
	.p2align	6
.LBB4_168:                              ; =>This Inner Loop Header: Depth=1
	s_sleep 1
	s_clause 0x1
	global_load_dwordx2 v[3:4], v2, s[6:7] offset:40
	global_load_dwordx2 v[10:11], v2, s[6:7]
	v_mov_b32_e32 v5, v8
	v_mov_b32_e32 v6, v9
	s_waitcnt vmcnt(1)
	v_and_b32_e32 v3, v3, v5
	v_and_b32_e32 v4, v4, v6
	s_waitcnt vmcnt(0)
	v_mad_u64_u32 v[7:8], null, v3, 24, v[10:11]
	v_mov_b32_e32 v3, v8
	v_mad_u64_u32 v[3:4], null, v4, 24, v[3:4]
	v_mov_b32_e32 v8, v3
	global_load_dwordx2 v[3:4], v[7:8], off glc dlc
	s_waitcnt vmcnt(0)
	global_atomic_cmpswap_x2 v[8:9], v2, v[3:6], s[6:7] offset:24 glc
	s_waitcnt vmcnt(0)
	buffer_gl1_inv
	buffer_gl0_inv
	v_cmp_eq_u64_e32 vcc_lo, v[8:9], v[5:6]
	s_or_b32 s10, vcc_lo, s10
	s_andn2_b32 exec_lo, exec_lo, s10
	s_cbranch_execnz .LBB4_168
; %bb.169:
	s_or_b32 exec_lo, exec_lo, s10
.LBB4_170:
	s_or_b32 exec_lo, exec_lo, s9
.LBB4_171:
	s_or_b32 exec_lo, exec_lo, s8
	v_mov_b32_e32 v3, 0
	v_readfirstlane_b32 s9, v9
	v_readfirstlane_b32 s8, v8
	s_mov_b32 s13, exec_lo
	s_clause 0x1
	global_load_dwordx2 v[10:11], v3, s[6:7] offset:40
	global_load_dwordx4 v[4:7], v3, s[6:7]
	s_waitcnt vmcnt(1)
	v_readfirstlane_b32 s10, v10
	v_readfirstlane_b32 s11, v11
	s_and_b64 s[10:11], s[10:11], s[8:9]
	s_mul_i32 s14, s11, 24
	s_mul_hi_u32 s15, s10, 24
	s_mul_i32 s16, s10, 24
	s_add_i32 s15, s15, s14
	s_waitcnt vmcnt(0)
	v_add_co_u32 v8, vcc_lo, v4, s16
	v_add_co_ci_u32_e64 v9, null, s15, v5, vcc_lo
	s_and_saveexec_b32 s14, s1
	s_cbranch_execz .LBB4_173
; %bb.172:
	v_mov_b32_e32 v2, s13
	v_mov_b32_e32 v11, v3
	;; [unrolled: 1-line block ×5, first 2 shown]
	global_store_dwordx4 v[8:9], v[10:13], off offset:8
.LBB4_173:
	s_or_b32 exec_lo, exec_lo, s14
	s_lshl_b64 s[10:11], s[10:11], 12
	s_mov_b32 s16, 0
	v_add_co_u32 v6, vcc_lo, v6, s10
	v_add_co_ci_u32_e64 v7, null, s11, v7, vcc_lo
	s_mov_b32 s17, s16
	v_readfirstlane_b32 s10, v6
	v_add_co_u32 v6, vcc_lo, v6, v30
	s_mov_b32 s18, s16
	s_mov_b32 s19, s16
	v_cndmask_b32_e64 v2, -1, v32, s0
	v_and_or_b32 v0, 0xffffff1f, v0, 32
	v_readfirstlane_b32 s11, v7
	v_mov_b32_e32 v10, s16
	v_add_co_ci_u32_e64 v7, null, 0, v7, vcc_lo
	v_mov_b32_e32 v11, s17
	v_mov_b32_e32 v12, s18
	;; [unrolled: 1-line block ×3, first 2 shown]
	global_store_dwordx4 v30, v[0:3], s[10:11]
	global_store_dwordx4 v30, v[10:13], s[10:11] offset:16
	global_store_dwordx4 v30, v[10:13], s[10:11] offset:32
	;; [unrolled: 1-line block ×3, first 2 shown]
	s_and_saveexec_b32 s0, s1
	s_cbranch_execz .LBB4_181
; %bb.174:
	v_mov_b32_e32 v10, 0
	v_mov_b32_e32 v11, s8
	;; [unrolled: 1-line block ×3, first 2 shown]
	s_clause 0x1
	global_load_dwordx2 v[13:14], v10, s[6:7] offset:32 glc dlc
	global_load_dwordx2 v[0:1], v10, s[6:7] offset:40
	s_waitcnt vmcnt(0)
	v_readfirstlane_b32 s10, v0
	v_readfirstlane_b32 s11, v1
	s_and_b64 s[10:11], s[10:11], s[8:9]
	s_mul_i32 s11, s11, 24
	s_mul_hi_u32 s13, s10, 24
	s_mul_i32 s10, s10, 24
	s_add_i32 s13, s13, s11
	v_add_co_u32 v4, vcc_lo, v4, s10
	v_add_co_ci_u32_e64 v5, null, s13, v5, vcc_lo
	s_mov_b32 s10, exec_lo
	global_store_dwordx2 v[4:5], v[13:14], off
	s_waitcnt_vscnt null, 0x0
	global_atomic_cmpswap_x2 v[2:3], v10, v[11:14], s[6:7] offset:32 glc
	s_waitcnt vmcnt(0)
	v_cmpx_ne_u64_e64 v[2:3], v[13:14]
	s_cbranch_execz .LBB4_177
; %bb.175:
	s_mov_b32 s11, 0
.LBB4_176:                              ; =>This Inner Loop Header: Depth=1
	v_mov_b32_e32 v0, s8
	v_mov_b32_e32 v1, s9
	s_sleep 1
	global_store_dwordx2 v[4:5], v[2:3], off
	s_waitcnt_vscnt null, 0x0
	global_atomic_cmpswap_x2 v[0:1], v10, v[0:3], s[6:7] offset:32 glc
	s_waitcnt vmcnt(0)
	v_cmp_eq_u64_e32 vcc_lo, v[0:1], v[2:3]
	v_mov_b32_e32 v3, v1
	v_mov_b32_e32 v2, v0
	s_or_b32 s11, vcc_lo, s11
	s_andn2_b32 exec_lo, exec_lo, s11
	s_cbranch_execnz .LBB4_176
.LBB4_177:
	s_or_b32 exec_lo, exec_lo, s10
	v_mov_b32_e32 v3, 0
	s_mov_b32 s11, exec_lo
	s_mov_b32 s10, exec_lo
	v_mbcnt_lo_u32_b32 v2, s11, 0
	global_load_dwordx2 v[0:1], v3, s[6:7] offset:16
	v_cmpx_eq_u32_e32 0, v2
	s_cbranch_execz .LBB4_179
; %bb.178:
	s_bcnt1_i32_b32 s11, s11
	v_mov_b32_e32 v2, s11
	s_waitcnt vmcnt(0)
	global_atomic_add_x2 v[0:1], v[2:3], off offset:8
.LBB4_179:
	s_or_b32 exec_lo, exec_lo, s10
	s_waitcnt vmcnt(0)
	global_load_dwordx2 v[2:3], v[0:1], off offset:16
	s_waitcnt vmcnt(0)
	v_cmp_eq_u64_e32 vcc_lo, 0, v[2:3]
	s_cbranch_vccnz .LBB4_181
; %bb.180:
	global_load_dword v0, v[0:1], off offset:24
	v_mov_b32_e32 v1, 0
	s_waitcnt vmcnt(0)
	v_readfirstlane_b32 s10, v0
	s_waitcnt_vscnt null, 0x0
	global_store_dwordx2 v[2:3], v[0:1], off
	s_and_b32 m0, s10, 0x7fffff
	s_sendmsg sendmsg(MSG_INTERRUPT)
.LBB4_181:
	s_or_b32 exec_lo, exec_lo, s0
	s_branch .LBB4_185
	.p2align	6
.LBB4_182:                              ;   in Loop: Header=BB4_185 Depth=1
	s_or_b32 exec_lo, exec_lo, s0
	v_readfirstlane_b32 s0, v0
	s_cmp_eq_u32 s0, 0
	s_cbranch_scc1 .LBB4_184
; %bb.183:                              ;   in Loop: Header=BB4_185 Depth=1
	s_sleep 1
	s_cbranch_execnz .LBB4_185
	s_branch .LBB4_187
	.p2align	6
.LBB4_184:
	s_branch .LBB4_187
.LBB4_185:                              ; =>This Inner Loop Header: Depth=1
	v_mov_b32_e32 v0, 1
	s_and_saveexec_b32 s0, s1
	s_cbranch_execz .LBB4_182
; %bb.186:                              ;   in Loop: Header=BB4_185 Depth=1
	global_load_dword v0, v[8:9], off offset:20 glc dlc
	s_waitcnt vmcnt(0)
	buffer_gl1_inv
	buffer_gl0_inv
	v_and_b32_e32 v0, 1, v0
	s_branch .LBB4_182
.LBB4_187:
	global_load_dwordx2 v[0:1], v[6:7], off
	s_and_saveexec_b32 s10, s1
	s_cbranch_execz .LBB4_191
; %bb.188:
	v_mov_b32_e32 v8, 0
	s_clause 0x2
	global_load_dwordx2 v[2:3], v8, s[6:7] offset:40
	global_load_dwordx2 v[11:12], v8, s[6:7] offset:24 glc dlc
	global_load_dwordx2 v[4:5], v8, s[6:7]
	s_waitcnt vmcnt(2)
	v_readfirstlane_b32 s14, v2
	v_readfirstlane_b32 s15, v3
	s_add_u32 s11, s14, 1
	s_addc_u32 s13, s15, 0
	s_add_u32 s0, s11, s8
	s_addc_u32 s1, s13, s9
	s_cmp_eq_u64 s[0:1], 0
	s_cselect_b32 s1, s13, s1
	s_cselect_b32 s0, s11, s0
	v_mov_b32_e32 v10, s1
	s_and_b64 s[8:9], s[0:1], s[14:15]
	v_mov_b32_e32 v9, s0
	s_mul_i32 s9, s9, 24
	s_mul_hi_u32 s11, s8, 24
	s_mul_i32 s8, s8, 24
	s_add_i32 s11, s11, s9
	s_waitcnt vmcnt(0)
	v_add_co_u32 v6, vcc_lo, v4, s8
	v_add_co_ci_u32_e64 v7, null, s11, v5, vcc_lo
	global_store_dwordx2 v[6:7], v[11:12], off
	s_waitcnt_vscnt null, 0x0
	global_atomic_cmpswap_x2 v[4:5], v8, v[9:12], s[6:7] offset:24 glc
	s_waitcnt vmcnt(0)
	v_cmp_ne_u64_e32 vcc_lo, v[4:5], v[11:12]
	s_and_b32 exec_lo, exec_lo, vcc_lo
	s_cbranch_execz .LBB4_191
; %bb.189:
	s_mov_b32 s8, 0
.LBB4_190:                              ; =>This Inner Loop Header: Depth=1
	v_mov_b32_e32 v2, s0
	v_mov_b32_e32 v3, s1
	s_sleep 1
	global_store_dwordx2 v[6:7], v[4:5], off
	s_waitcnt_vscnt null, 0x0
	global_atomic_cmpswap_x2 v[2:3], v8, v[2:5], s[6:7] offset:24 glc
	s_waitcnt vmcnt(0)
	v_cmp_eq_u64_e32 vcc_lo, v[2:3], v[4:5]
	v_mov_b32_e32 v5, v3
	v_mov_b32_e32 v4, v2
	s_or_b32 s8, vcc_lo, s8
	s_andn2_b32 exec_lo, exec_lo, s8
	s_cbranch_execnz .LBB4_190
.LBB4_191:
	s_or_b32 exec_lo, exec_lo, s10
	v_readfirstlane_b32 s0, v31
	v_mov_b32_e32 v8, 0
	v_mov_b32_e32 v9, 0
	v_cmp_eq_u32_e64 s0, s0, v31
	s_and_saveexec_b32 s1, s0
	s_cbranch_execz .LBB4_197
; %bb.192:
	v_mov_b32_e32 v2, 0
	s_mov_b32 s8, exec_lo
	global_load_dwordx2 v[5:6], v2, s[6:7] offset:24 glc dlc
	s_waitcnt vmcnt(0)
	buffer_gl1_inv
	buffer_gl0_inv
	s_clause 0x1
	global_load_dwordx2 v[3:4], v2, s[6:7] offset:40
	global_load_dwordx2 v[7:8], v2, s[6:7]
	s_waitcnt vmcnt(1)
	v_and_b32_e32 v4, v4, v6
	v_and_b32_e32 v3, v3, v5
	v_mul_lo_u32 v4, v4, 24
	v_mul_hi_u32 v9, v3, 24
	v_mul_lo_u32 v3, v3, 24
	v_add_nc_u32_e32 v4, v9, v4
	s_waitcnt vmcnt(0)
	v_add_co_u32 v3, vcc_lo, v7, v3
	v_add_co_ci_u32_e64 v4, null, v8, v4, vcc_lo
	global_load_dwordx2 v[3:4], v[3:4], off glc dlc
	s_waitcnt vmcnt(0)
	global_atomic_cmpswap_x2 v[8:9], v2, v[3:6], s[6:7] offset:24 glc
	s_waitcnt vmcnt(0)
	buffer_gl1_inv
	buffer_gl0_inv
	v_cmpx_ne_u64_e64 v[8:9], v[5:6]
	s_cbranch_execz .LBB4_196
; %bb.193:
	s_mov_b32 s9, 0
	.p2align	6
.LBB4_194:                              ; =>This Inner Loop Header: Depth=1
	s_sleep 1
	s_clause 0x1
	global_load_dwordx2 v[3:4], v2, s[6:7] offset:40
	global_load_dwordx2 v[10:11], v2, s[6:7]
	v_mov_b32_e32 v5, v8
	v_mov_b32_e32 v6, v9
	s_waitcnt vmcnt(1)
	v_and_b32_e32 v3, v3, v5
	v_and_b32_e32 v4, v4, v6
	s_waitcnt vmcnt(0)
	v_mad_u64_u32 v[7:8], null, v3, 24, v[10:11]
	v_mov_b32_e32 v3, v8
	v_mad_u64_u32 v[3:4], null, v4, 24, v[3:4]
	v_mov_b32_e32 v8, v3
	global_load_dwordx2 v[3:4], v[7:8], off glc dlc
	s_waitcnt vmcnt(0)
	global_atomic_cmpswap_x2 v[8:9], v2, v[3:6], s[6:7] offset:24 glc
	s_waitcnt vmcnt(0)
	buffer_gl1_inv
	buffer_gl0_inv
	v_cmp_eq_u64_e32 vcc_lo, v[8:9], v[5:6]
	s_or_b32 s9, vcc_lo, s9
	s_andn2_b32 exec_lo, exec_lo, s9
	s_cbranch_execnz .LBB4_194
; %bb.195:
	s_or_b32 exec_lo, exec_lo, s9
.LBB4_196:
	s_or_b32 exec_lo, exec_lo, s8
.LBB4_197:
	s_or_b32 exec_lo, exec_lo, s1
	v_mov_b32_e32 v3, 0
	v_readfirstlane_b32 s9, v9
	v_readfirstlane_b32 s8, v8
	s_mov_b32 s1, exec_lo
	s_clause 0x1
	global_load_dwordx2 v[10:11], v3, s[6:7] offset:40
	global_load_dwordx4 v[4:7], v3, s[6:7]
	s_waitcnt vmcnt(1)
	v_readfirstlane_b32 s10, v10
	v_readfirstlane_b32 s11, v11
	s_and_b64 s[10:11], s[10:11], s[8:9]
	s_mul_i32 s13, s11, 24
	s_mul_hi_u32 s14, s10, 24
	s_mul_i32 s15, s10, 24
	s_add_i32 s14, s14, s13
	s_waitcnt vmcnt(0)
	v_add_co_u32 v8, vcc_lo, v4, s15
	v_add_co_ci_u32_e64 v9, null, s14, v5, vcc_lo
	s_and_saveexec_b32 s13, s0
	s_cbranch_execz .LBB4_199
; %bb.198:
	v_mov_b32_e32 v2, s1
	v_mov_b32_e32 v11, v3
	;; [unrolled: 1-line block ×5, first 2 shown]
	global_store_dwordx4 v[8:9], v[10:13], off offset:8
.LBB4_199:
	s_or_b32 exec_lo, exec_lo, s13
	s_lshl_b64 s[10:11], s[10:11], 12
	s_mul_i32 s12, s12, s20
	v_add_co_u32 v6, vcc_lo, v6, s10
	v_add_co_ci_u32_e64 v7, null, s11, v7, vcc_lo
	s_lshr_b32 s1, s12, 1
	s_mov_b32 s12, 0
	v_and_or_b32 v0, 0xffffff1d, v0, 34
	s_mov_b32 s13, s12
	s_mov_b32 s14, s12
	;; [unrolled: 1-line block ×3, first 2 shown]
	v_mov_b32_e32 v2, s1
	v_readfirstlane_b32 s10, v6
	v_readfirstlane_b32 s11, v7
	v_mov_b32_e32 v10, s12
	v_mov_b32_e32 v11, s13
	;; [unrolled: 1-line block ×4, first 2 shown]
	global_store_dwordx4 v30, v[0:3], s[10:11]
	global_store_dwordx4 v30, v[10:13], s[10:11] offset:16
	global_store_dwordx4 v30, v[10:13], s[10:11] offset:32
	;; [unrolled: 1-line block ×3, first 2 shown]
	s_and_saveexec_b32 s1, s0
	s_cbranch_execz .LBB4_207
; %bb.200:
	v_mov_b32_e32 v6, 0
	v_mov_b32_e32 v10, s8
	;; [unrolled: 1-line block ×3, first 2 shown]
	s_clause 0x1
	global_load_dwordx2 v[12:13], v6, s[6:7] offset:32 glc dlc
	global_load_dwordx2 v[0:1], v6, s[6:7] offset:40
	s_waitcnt vmcnt(0)
	v_readfirstlane_b32 s10, v0
	v_readfirstlane_b32 s11, v1
	s_and_b64 s[10:11], s[10:11], s[8:9]
	s_mul_i32 s11, s11, 24
	s_mul_hi_u32 s12, s10, 24
	s_mul_i32 s10, s10, 24
	s_add_i32 s12, s12, s11
	v_add_co_u32 v4, vcc_lo, v4, s10
	v_add_co_ci_u32_e64 v5, null, s12, v5, vcc_lo
	s_mov_b32 s10, exec_lo
	global_store_dwordx2 v[4:5], v[12:13], off
	s_waitcnt_vscnt null, 0x0
	global_atomic_cmpswap_x2 v[2:3], v6, v[10:13], s[6:7] offset:32 glc
	s_waitcnt vmcnt(0)
	v_cmpx_ne_u64_e64 v[2:3], v[12:13]
	s_cbranch_execz .LBB4_203
; %bb.201:
	s_mov_b32 s11, 0
.LBB4_202:                              ; =>This Inner Loop Header: Depth=1
	v_mov_b32_e32 v0, s8
	v_mov_b32_e32 v1, s9
	s_sleep 1
	global_store_dwordx2 v[4:5], v[2:3], off
	s_waitcnt_vscnt null, 0x0
	global_atomic_cmpswap_x2 v[0:1], v6, v[0:3], s[6:7] offset:32 glc
	s_waitcnt vmcnt(0)
	v_cmp_eq_u64_e32 vcc_lo, v[0:1], v[2:3]
	v_mov_b32_e32 v3, v1
	v_mov_b32_e32 v2, v0
	s_or_b32 s11, vcc_lo, s11
	s_andn2_b32 exec_lo, exec_lo, s11
	s_cbranch_execnz .LBB4_202
.LBB4_203:
	s_or_b32 exec_lo, exec_lo, s10
	v_mov_b32_e32 v3, 0
	s_mov_b32 s11, exec_lo
	s_mov_b32 s10, exec_lo
	v_mbcnt_lo_u32_b32 v2, s11, 0
	global_load_dwordx2 v[0:1], v3, s[6:7] offset:16
	v_cmpx_eq_u32_e32 0, v2
	s_cbranch_execz .LBB4_205
; %bb.204:
	s_bcnt1_i32_b32 s11, s11
	v_mov_b32_e32 v2, s11
	s_waitcnt vmcnt(0)
	global_atomic_add_x2 v[0:1], v[2:3], off offset:8
.LBB4_205:
	s_or_b32 exec_lo, exec_lo, s10
	s_waitcnt vmcnt(0)
	global_load_dwordx2 v[2:3], v[0:1], off offset:16
	s_waitcnt vmcnt(0)
	v_cmp_eq_u64_e32 vcc_lo, 0, v[2:3]
	s_cbranch_vccnz .LBB4_207
; %bb.206:
	global_load_dword v0, v[0:1], off offset:24
	v_mov_b32_e32 v1, 0
	s_waitcnt vmcnt(0)
	v_readfirstlane_b32 s10, v0
	s_waitcnt_vscnt null, 0x0
	global_store_dwordx2 v[2:3], v[0:1], off
	s_and_b32 m0, s10, 0x7fffff
	s_sendmsg sendmsg(MSG_INTERRUPT)
.LBB4_207:
	s_or_b32 exec_lo, exec_lo, s1
	s_branch .LBB4_211
	.p2align	6
.LBB4_208:                              ;   in Loop: Header=BB4_211 Depth=1
	s_or_b32 exec_lo, exec_lo, s1
	v_readfirstlane_b32 s1, v0
	s_cmp_eq_u32 s1, 0
	s_cbranch_scc1 .LBB4_210
; %bb.209:                              ;   in Loop: Header=BB4_211 Depth=1
	s_sleep 1
	s_cbranch_execnz .LBB4_211
	s_branch .LBB4_213
	.p2align	6
.LBB4_210:
	s_branch .LBB4_213
.LBB4_211:                              ; =>This Inner Loop Header: Depth=1
	v_mov_b32_e32 v0, 1
	s_and_saveexec_b32 s1, s0
	s_cbranch_execz .LBB4_208
; %bb.212:                              ;   in Loop: Header=BB4_211 Depth=1
	global_load_dword v0, v[8:9], off offset:20 glc dlc
	s_waitcnt vmcnt(0)
	buffer_gl1_inv
	buffer_gl0_inv
	v_and_b32_e32 v0, 1, v0
	s_branch .LBB4_208
.LBB4_213:
	s_and_saveexec_b32 s10, s0
	s_cbranch_execz .LBB4_217
; %bb.214:
	v_mov_b32_e32 v6, 0
	s_clause 0x2
	global_load_dwordx2 v[0:1], v6, s[6:7] offset:40
	global_load_dwordx2 v[9:10], v6, s[6:7] offset:24 glc dlc
	global_load_dwordx2 v[2:3], v6, s[6:7]
	s_waitcnt vmcnt(2)
	v_readfirstlane_b32 s12, v0
	v_readfirstlane_b32 s13, v1
	s_add_u32 s11, s12, 1
	s_addc_u32 s14, s13, 0
	s_add_u32 s0, s11, s8
	s_addc_u32 s1, s14, s9
	s_cmp_eq_u64 s[0:1], 0
	s_cselect_b32 s1, s14, s1
	s_cselect_b32 s0, s11, s0
	v_mov_b32_e32 v8, s1
	s_and_b64 s[8:9], s[0:1], s[12:13]
	v_mov_b32_e32 v7, s0
	s_mul_i32 s9, s9, 24
	s_mul_hi_u32 s11, s8, 24
	s_mul_i32 s8, s8, 24
	s_add_i32 s11, s11, s9
	s_waitcnt vmcnt(0)
	v_add_co_u32 v4, vcc_lo, v2, s8
	v_add_co_ci_u32_e64 v5, null, s11, v3, vcc_lo
	global_store_dwordx2 v[4:5], v[9:10], off
	s_waitcnt_vscnt null, 0x0
	global_atomic_cmpswap_x2 v[2:3], v6, v[7:10], s[6:7] offset:24 glc
	s_waitcnt vmcnt(0)
	v_cmp_ne_u64_e32 vcc_lo, v[2:3], v[9:10]
	s_and_b32 exec_lo, exec_lo, vcc_lo
	s_cbranch_execz .LBB4_217
; %bb.215:
	s_mov_b32 s8, 0
.LBB4_216:                              ; =>This Inner Loop Header: Depth=1
	v_mov_b32_e32 v0, s0
	v_mov_b32_e32 v1, s1
	s_sleep 1
	global_store_dwordx2 v[4:5], v[2:3], off
	s_waitcnt_vscnt null, 0x0
	global_atomic_cmpswap_x2 v[0:1], v6, v[0:3], s[6:7] offset:24 glc
	s_waitcnt vmcnt(0)
	v_cmp_eq_u64_e32 vcc_lo, v[0:1], v[2:3]
	v_mov_b32_e32 v3, v1
	v_mov_b32_e32 v2, v0
	s_or_b32 s8, vcc_lo, s8
	s_andn2_b32 exec_lo, exec_lo, s8
	s_cbranch_execnz .LBB4_216
.LBB4_217:
	s_or_b32 exec_lo, exec_lo, s10
	v_readfirstlane_b32 s0, v31
	v_mov_b32_e32 v6, 0
	v_mov_b32_e32 v7, 0
	v_cmp_eq_u32_e64 s0, s0, v31
	s_and_saveexec_b32 s1, s0
	s_cbranch_execz .LBB4_223
; %bb.218:
	v_mov_b32_e32 v0, 0
	s_mov_b32 s8, exec_lo
	global_load_dwordx2 v[3:4], v0, s[6:7] offset:24 glc dlc
	s_waitcnt vmcnt(0)
	buffer_gl1_inv
	buffer_gl0_inv
	s_clause 0x1
	global_load_dwordx2 v[1:2], v0, s[6:7] offset:40
	global_load_dwordx2 v[5:6], v0, s[6:7]
	s_waitcnt vmcnt(1)
	v_and_b32_e32 v2, v2, v4
	v_and_b32_e32 v1, v1, v3
	v_mul_lo_u32 v2, v2, 24
	v_mul_hi_u32 v7, v1, 24
	v_mul_lo_u32 v1, v1, 24
	v_add_nc_u32_e32 v2, v7, v2
	s_waitcnt vmcnt(0)
	v_add_co_u32 v1, vcc_lo, v5, v1
	v_add_co_ci_u32_e64 v2, null, v6, v2, vcc_lo
	global_load_dwordx2 v[1:2], v[1:2], off glc dlc
	s_waitcnt vmcnt(0)
	global_atomic_cmpswap_x2 v[6:7], v0, v[1:4], s[6:7] offset:24 glc
	s_waitcnt vmcnt(0)
	buffer_gl1_inv
	buffer_gl0_inv
	v_cmpx_ne_u64_e64 v[6:7], v[3:4]
	s_cbranch_execz .LBB4_222
; %bb.219:
	s_mov_b32 s9, 0
	.p2align	6
.LBB4_220:                              ; =>This Inner Loop Header: Depth=1
	s_sleep 1
	s_clause 0x1
	global_load_dwordx2 v[1:2], v0, s[6:7] offset:40
	global_load_dwordx2 v[8:9], v0, s[6:7]
	v_mov_b32_e32 v3, v6
	v_mov_b32_e32 v4, v7
	s_waitcnt vmcnt(1)
	v_and_b32_e32 v1, v1, v3
	v_and_b32_e32 v2, v2, v4
	s_waitcnt vmcnt(0)
	v_mad_u64_u32 v[5:6], null, v1, 24, v[8:9]
	v_mov_b32_e32 v1, v6
	v_mad_u64_u32 v[1:2], null, v2, 24, v[1:2]
	v_mov_b32_e32 v6, v1
	global_load_dwordx2 v[1:2], v[5:6], off glc dlc
	s_waitcnt vmcnt(0)
	global_atomic_cmpswap_x2 v[6:7], v0, v[1:4], s[6:7] offset:24 glc
	s_waitcnt vmcnt(0)
	buffer_gl1_inv
	buffer_gl0_inv
	v_cmp_eq_u64_e32 vcc_lo, v[6:7], v[3:4]
	s_or_b32 s9, vcc_lo, s9
	s_andn2_b32 exec_lo, exec_lo, s9
	s_cbranch_execnz .LBB4_220
; %bb.221:
	s_or_b32 exec_lo, exec_lo, s9
.LBB4_222:
	s_or_b32 exec_lo, exec_lo, s8
.LBB4_223:
	s_or_b32 exec_lo, exec_lo, s1
	v_mov_b32_e32 v5, 0
	v_readfirstlane_b32 s9, v7
	v_readfirstlane_b32 s8, v6
	s_mov_b32 s1, exec_lo
	s_clause 0x1
	global_load_dwordx2 v[8:9], v5, s[6:7] offset:40
	global_load_dwordx4 v[0:3], v5, s[6:7]
	s_waitcnt vmcnt(1)
	v_readfirstlane_b32 s10, v8
	v_readfirstlane_b32 s11, v9
	s_and_b64 s[10:11], s[10:11], s[8:9]
	s_mul_i32 s12, s11, 24
	s_mul_hi_u32 s13, s10, 24
	s_mul_i32 s14, s10, 24
	s_add_i32 s13, s13, s12
	s_waitcnt vmcnt(0)
	v_add_co_u32 v8, vcc_lo, v0, s14
	v_add_co_ci_u32_e64 v9, null, s13, v1, vcc_lo
	s_and_saveexec_b32 s12, s0
	s_cbranch_execz .LBB4_225
; %bb.224:
	v_mov_b32_e32 v4, s1
	v_mov_b32_e32 v6, 2
	;; [unrolled: 1-line block ×3, first 2 shown]
	global_store_dwordx4 v[8:9], v[4:7], off offset:8
.LBB4_225:
	s_or_b32 exec_lo, exec_lo, s12
	s_lshl_b64 s[10:11], s[10:11], 12
	s_mov_b32 s12, 0
	v_add_co_u32 v2, vcc_lo, v2, s10
	v_add_co_ci_u32_e64 v3, null, s11, v3, vcc_lo
	s_mov_b32 s13, s12
	v_add_co_u32 v10, vcc_lo, v2, v30
	s_mov_b32 s14, s12
	s_mov_b32 s15, s12
	v_mov_b32_e32 v4, 33
	v_mov_b32_e32 v6, v5
	;; [unrolled: 1-line block ×3, first 2 shown]
	v_readfirstlane_b32 s10, v2
	v_readfirstlane_b32 s11, v3
	v_mov_b32_e32 v12, s12
	v_add_co_ci_u32_e64 v11, null, 0, v3, vcc_lo
	v_mov_b32_e32 v13, s13
	v_mov_b32_e32 v14, s14
	;; [unrolled: 1-line block ×3, first 2 shown]
	global_store_dwordx4 v30, v[4:7], s[10:11]
	global_store_dwordx4 v30, v[12:15], s[10:11] offset:16
	global_store_dwordx4 v30, v[12:15], s[10:11] offset:32
	;; [unrolled: 1-line block ×3, first 2 shown]
	s_and_saveexec_b32 s1, s0
	s_cbranch_execz .LBB4_233
; %bb.226:
	v_mov_b32_e32 v6, 0
	v_mov_b32_e32 v12, s8
	;; [unrolled: 1-line block ×3, first 2 shown]
	s_clause 0x1
	global_load_dwordx2 v[14:15], v6, s[6:7] offset:32 glc dlc
	global_load_dwordx2 v[2:3], v6, s[6:7] offset:40
	s_waitcnt vmcnt(0)
	v_readfirstlane_b32 s10, v2
	v_readfirstlane_b32 s11, v3
	s_and_b64 s[10:11], s[10:11], s[8:9]
	s_mul_i32 s11, s11, 24
	s_mul_hi_u32 s12, s10, 24
	s_mul_i32 s10, s10, 24
	s_add_i32 s12, s12, s11
	v_add_co_u32 v4, vcc_lo, v0, s10
	v_add_co_ci_u32_e64 v5, null, s12, v1, vcc_lo
	s_mov_b32 s10, exec_lo
	global_store_dwordx2 v[4:5], v[14:15], off
	s_waitcnt_vscnt null, 0x0
	global_atomic_cmpswap_x2 v[2:3], v6, v[12:15], s[6:7] offset:32 glc
	s_waitcnt vmcnt(0)
	v_cmpx_ne_u64_e64 v[2:3], v[14:15]
	s_cbranch_execz .LBB4_229
; %bb.227:
	s_mov_b32 s11, 0
.LBB4_228:                              ; =>This Inner Loop Header: Depth=1
	v_mov_b32_e32 v0, s8
	v_mov_b32_e32 v1, s9
	s_sleep 1
	global_store_dwordx2 v[4:5], v[2:3], off
	s_waitcnt_vscnt null, 0x0
	global_atomic_cmpswap_x2 v[0:1], v6, v[0:3], s[6:7] offset:32 glc
	s_waitcnt vmcnt(0)
	v_cmp_eq_u64_e32 vcc_lo, v[0:1], v[2:3]
	v_mov_b32_e32 v3, v1
	v_mov_b32_e32 v2, v0
	s_or_b32 s11, vcc_lo, s11
	s_andn2_b32 exec_lo, exec_lo, s11
	s_cbranch_execnz .LBB4_228
.LBB4_229:
	s_or_b32 exec_lo, exec_lo, s10
	v_mov_b32_e32 v3, 0
	s_mov_b32 s11, exec_lo
	s_mov_b32 s10, exec_lo
	v_mbcnt_lo_u32_b32 v2, s11, 0
	global_load_dwordx2 v[0:1], v3, s[6:7] offset:16
	v_cmpx_eq_u32_e32 0, v2
	s_cbranch_execz .LBB4_231
; %bb.230:
	s_bcnt1_i32_b32 s11, s11
	v_mov_b32_e32 v2, s11
	s_waitcnt vmcnt(0)
	global_atomic_add_x2 v[0:1], v[2:3], off offset:8
.LBB4_231:
	s_or_b32 exec_lo, exec_lo, s10
	s_waitcnt vmcnt(0)
	global_load_dwordx2 v[2:3], v[0:1], off offset:16
	s_waitcnt vmcnt(0)
	v_cmp_eq_u64_e32 vcc_lo, 0, v[2:3]
	s_cbranch_vccnz .LBB4_233
; %bb.232:
	global_load_dword v0, v[0:1], off offset:24
	v_mov_b32_e32 v1, 0
	s_waitcnt vmcnt(0)
	v_readfirstlane_b32 s10, v0
	s_waitcnt_vscnt null, 0x0
	global_store_dwordx2 v[2:3], v[0:1], off
	s_and_b32 m0, s10, 0x7fffff
	s_sendmsg sendmsg(MSG_INTERRUPT)
.LBB4_233:
	s_or_b32 exec_lo, exec_lo, s1
	s_branch .LBB4_237
	.p2align	6
.LBB4_234:                              ;   in Loop: Header=BB4_237 Depth=1
	s_or_b32 exec_lo, exec_lo, s1
	v_readfirstlane_b32 s1, v0
	s_cmp_eq_u32 s1, 0
	s_cbranch_scc1 .LBB4_236
; %bb.235:                              ;   in Loop: Header=BB4_237 Depth=1
	s_sleep 1
	s_cbranch_execnz .LBB4_237
	s_branch .LBB4_239
	.p2align	6
.LBB4_236:
	s_branch .LBB4_239
.LBB4_237:                              ; =>This Inner Loop Header: Depth=1
	v_mov_b32_e32 v0, 1
	s_and_saveexec_b32 s1, s0
	s_cbranch_execz .LBB4_234
; %bb.238:                              ;   in Loop: Header=BB4_237 Depth=1
	global_load_dword v0, v[8:9], off offset:20 glc dlc
	s_waitcnt vmcnt(0)
	buffer_gl1_inv
	buffer_gl0_inv
	v_and_b32_e32 v0, 1, v0
	s_branch .LBB4_234
.LBB4_239:
	global_load_dwordx2 v[0:1], v[10:11], off
	s_and_saveexec_b32 s10, s0
	s_cbranch_execz .LBB4_243
; %bb.240:
	v_mov_b32_e32 v8, 0
	s_clause 0x2
	global_load_dwordx2 v[2:3], v8, s[6:7] offset:40
	global_load_dwordx2 v[11:12], v8, s[6:7] offset:24 glc dlc
	global_load_dwordx2 v[4:5], v8, s[6:7]
	s_waitcnt vmcnt(2)
	v_readfirstlane_b32 s12, v2
	v_readfirstlane_b32 s13, v3
	s_add_u32 s11, s12, 1
	s_addc_u32 s14, s13, 0
	s_add_u32 s0, s11, s8
	s_addc_u32 s1, s14, s9
	s_cmp_eq_u64 s[0:1], 0
	s_cselect_b32 s1, s14, s1
	s_cselect_b32 s0, s11, s0
	v_mov_b32_e32 v10, s1
	s_and_b64 s[8:9], s[0:1], s[12:13]
	v_mov_b32_e32 v9, s0
	s_mul_i32 s9, s9, 24
	s_mul_hi_u32 s11, s8, 24
	s_mul_i32 s8, s8, 24
	s_add_i32 s11, s11, s9
	s_waitcnt vmcnt(0)
	v_add_co_u32 v6, vcc_lo, v4, s8
	v_add_co_ci_u32_e64 v7, null, s11, v5, vcc_lo
	global_store_dwordx2 v[6:7], v[11:12], off
	s_waitcnt_vscnt null, 0x0
	global_atomic_cmpswap_x2 v[4:5], v8, v[9:12], s[6:7] offset:24 glc
	s_waitcnt vmcnt(0)
	v_cmp_ne_u64_e32 vcc_lo, v[4:5], v[11:12]
	s_and_b32 exec_lo, exec_lo, vcc_lo
	s_cbranch_execz .LBB4_243
; %bb.241:
	s_mov_b32 s8, 0
.LBB4_242:                              ; =>This Inner Loop Header: Depth=1
	v_mov_b32_e32 v2, s0
	v_mov_b32_e32 v3, s1
	s_sleep 1
	global_store_dwordx2 v[6:7], v[4:5], off
	s_waitcnt_vscnt null, 0x0
	global_atomic_cmpswap_x2 v[2:3], v8, v[2:5], s[6:7] offset:24 glc
	s_waitcnt vmcnt(0)
	v_cmp_eq_u64_e32 vcc_lo, v[2:3], v[4:5]
	v_mov_b32_e32 v5, v3
	v_mov_b32_e32 v4, v2
	s_or_b32 s8, vcc_lo, s8
	s_andn2_b32 exec_lo, exec_lo, s8
	s_cbranch_execnz .LBB4_242
.LBB4_243:
	s_or_b32 exec_lo, exec_lo, s10
	s_getpc_b64 s[8:9]
	s_add_u32 s8, s8, .str.1@rel32@lo+4
	s_addc_u32 s9, s9, .str.1@rel32@hi+12
	s_cmp_lg_u64 s[8:9], 0
	s_cbranch_scc0 .LBB4_322
; %bb.244:
	s_waitcnt vmcnt(0)
	v_and_b32_e32 v32, 2, v0
	v_mov_b32_e32 v7, 0
	v_and_b32_e32 v2, -3, v0
	v_mov_b32_e32 v3, v1
	v_mov_b32_e32 v8, 2
	;; [unrolled: 1-line block ×3, first 2 shown]
	s_mov_b64 s[10:11], 48
	s_branch .LBB4_246
.LBB4_245:                              ;   in Loop: Header=BB4_246 Depth=1
	s_or_b32 exec_lo, exec_lo, s16
	s_sub_u32 s10, s10, s12
	s_subb_u32 s11, s11, s13
	s_add_u32 s8, s8, s12
	s_addc_u32 s9, s9, s13
	s_cmp_lg_u64 s[10:11], 0
	s_cbranch_scc0 .LBB4_321
.LBB4_246:                              ; =>This Loop Header: Depth=1
                                        ;     Child Loop BB4_249 Depth 2
                                        ;     Child Loop BB4_256 Depth 2
	;; [unrolled: 1-line block ×11, first 2 shown]
	v_cmp_lt_u64_e64 s0, s[10:11], 56
	v_cmp_gt_u64_e64 s14, s[10:11], 7
	s_and_b32 s0, s0, exec_lo
	s_cselect_b32 s13, s11, 0
	s_cselect_b32 s12, s10, 56
	s_add_u32 s0, s8, 8
	s_addc_u32 s1, s9, 0
	s_and_b32 vcc_lo, exec_lo, s14
	s_cbranch_vccnz .LBB4_251
; %bb.247:                              ;   in Loop: Header=BB4_246 Depth=1
	v_mov_b32_e32 v4, 0
	v_mov_b32_e32 v5, 0
	s_cmp_eq_u64 s[10:11], 0
	s_cbranch_scc1 .LBB4_250
; %bb.248:                              ;   in Loop: Header=BB4_246 Depth=1
	s_lshl_b64 s[0:1], s[12:13], 3
	s_mov_b64 s[14:15], 0
	s_mov_b64 s[16:17], s[8:9]
.LBB4_249:                              ;   Parent Loop BB4_246 Depth=1
                                        ; =>  This Inner Loop Header: Depth=2
	global_load_ubyte v6, v7, s[16:17]
	s_waitcnt vmcnt(0)
	v_and_b32_e32 v6, 0xffff, v6
	v_lshlrev_b64 v[10:11], s14, v[6:7]
	s_add_u32 s14, s14, 8
	s_addc_u32 s15, s15, 0
	s_add_u32 s16, s16, 1
	s_addc_u32 s17, s17, 0
	s_cmp_lg_u32 s0, s14
	v_or_b32_e32 v4, v10, v4
	v_or_b32_e32 v5, v11, v5
	s_cbranch_scc1 .LBB4_249
.LBB4_250:                              ;   in Loop: Header=BB4_246 Depth=1
	s_mov_b64 s[0:1], s[8:9]
	s_mov_b32 s18, 0
	s_cbranch_execz .LBB4_252
	s_branch .LBB4_253
.LBB4_251:                              ;   in Loop: Header=BB4_246 Depth=1
	s_mov_b32 s18, 0
.LBB4_252:                              ;   in Loop: Header=BB4_246 Depth=1
	global_load_dwordx2 v[4:5], v7, s[8:9]
	s_add_i32 s18, s12, -8
.LBB4_253:                              ;   in Loop: Header=BB4_246 Depth=1
	s_add_u32 s14, s0, 8
	s_addc_u32 s15, s1, 0
	s_cmp_gt_u32 s18, 7
	s_cbranch_scc1 .LBB4_258
; %bb.254:                              ;   in Loop: Header=BB4_246 Depth=1
	v_mov_b32_e32 v10, 0
	v_mov_b32_e32 v11, 0
	s_cmp_eq_u32 s18, 0
	s_cbranch_scc1 .LBB4_257
; %bb.255:                              ;   in Loop: Header=BB4_246 Depth=1
	s_mov_b64 s[14:15], 0
	s_mov_b64 s[16:17], 0
.LBB4_256:                              ;   Parent Loop BB4_246 Depth=1
                                        ; =>  This Inner Loop Header: Depth=2
	s_add_u32 s24, s0, s16
	s_addc_u32 s25, s1, s17
	s_add_u32 s16, s16, 1
	global_load_ubyte v6, v7, s[24:25]
	s_addc_u32 s17, s17, 0
	s_waitcnt vmcnt(0)
	v_and_b32_e32 v6, 0xffff, v6
	v_lshlrev_b64 v[12:13], s14, v[6:7]
	s_add_u32 s14, s14, 8
	s_addc_u32 s15, s15, 0
	s_cmp_lg_u32 s18, s16
	v_or_b32_e32 v10, v12, v10
	v_or_b32_e32 v11, v13, v11
	s_cbranch_scc1 .LBB4_256
.LBB4_257:                              ;   in Loop: Header=BB4_246 Depth=1
	s_mov_b64 s[14:15], s[0:1]
	s_mov_b32 s19, 0
	s_cbranch_execz .LBB4_259
	s_branch .LBB4_260
.LBB4_258:                              ;   in Loop: Header=BB4_246 Depth=1
                                        ; implicit-def: $vgpr10_vgpr11
	s_mov_b32 s19, 0
.LBB4_259:                              ;   in Loop: Header=BB4_246 Depth=1
	global_load_dwordx2 v[10:11], v7, s[0:1]
	s_add_i32 s19, s18, -8
.LBB4_260:                              ;   in Loop: Header=BB4_246 Depth=1
	s_add_u32 s0, s14, 8
	s_addc_u32 s1, s15, 0
	s_cmp_gt_u32 s19, 7
	s_cbranch_scc1 .LBB4_265
; %bb.261:                              ;   in Loop: Header=BB4_246 Depth=1
	v_mov_b32_e32 v12, 0
	v_mov_b32_e32 v13, 0
	s_cmp_eq_u32 s19, 0
	s_cbranch_scc1 .LBB4_264
; %bb.262:                              ;   in Loop: Header=BB4_246 Depth=1
	s_mov_b64 s[0:1], 0
	s_mov_b64 s[16:17], 0
.LBB4_263:                              ;   Parent Loop BB4_246 Depth=1
                                        ; =>  This Inner Loop Header: Depth=2
	s_add_u32 s24, s14, s16
	s_addc_u32 s25, s15, s17
	s_add_u32 s16, s16, 1
	global_load_ubyte v6, v7, s[24:25]
	s_addc_u32 s17, s17, 0
	s_waitcnt vmcnt(0)
	v_and_b32_e32 v6, 0xffff, v6
	v_lshlrev_b64 v[14:15], s0, v[6:7]
	s_add_u32 s0, s0, 8
	s_addc_u32 s1, s1, 0
	s_cmp_lg_u32 s19, s16
	v_or_b32_e32 v12, v14, v12
	v_or_b32_e32 v13, v15, v13
	s_cbranch_scc1 .LBB4_263
.LBB4_264:                              ;   in Loop: Header=BB4_246 Depth=1
	s_mov_b64 s[0:1], s[14:15]
	s_mov_b32 s18, 0
	s_cbranch_execz .LBB4_266
	s_branch .LBB4_267
.LBB4_265:                              ;   in Loop: Header=BB4_246 Depth=1
	s_mov_b32 s18, 0
.LBB4_266:                              ;   in Loop: Header=BB4_246 Depth=1
	global_load_dwordx2 v[12:13], v7, s[14:15]
	s_add_i32 s18, s19, -8
.LBB4_267:                              ;   in Loop: Header=BB4_246 Depth=1
	s_add_u32 s14, s0, 8
	s_addc_u32 s15, s1, 0
	s_cmp_gt_u32 s18, 7
	s_cbranch_scc1 .LBB4_272
; %bb.268:                              ;   in Loop: Header=BB4_246 Depth=1
	v_mov_b32_e32 v14, 0
	v_mov_b32_e32 v15, 0
	s_cmp_eq_u32 s18, 0
	s_cbranch_scc1 .LBB4_271
; %bb.269:                              ;   in Loop: Header=BB4_246 Depth=1
	s_mov_b64 s[14:15], 0
	s_mov_b64 s[16:17], 0
.LBB4_270:                              ;   Parent Loop BB4_246 Depth=1
                                        ; =>  This Inner Loop Header: Depth=2
	s_add_u32 s24, s0, s16
	s_addc_u32 s25, s1, s17
	s_add_u32 s16, s16, 1
	global_load_ubyte v6, v7, s[24:25]
	s_addc_u32 s17, s17, 0
	s_waitcnt vmcnt(0)
	v_and_b32_e32 v6, 0xffff, v6
	v_lshlrev_b64 v[16:17], s14, v[6:7]
	s_add_u32 s14, s14, 8
	s_addc_u32 s15, s15, 0
	s_cmp_lg_u32 s18, s16
	v_or_b32_e32 v14, v16, v14
	v_or_b32_e32 v15, v17, v15
	s_cbranch_scc1 .LBB4_270
.LBB4_271:                              ;   in Loop: Header=BB4_246 Depth=1
	s_mov_b64 s[14:15], s[0:1]
	s_mov_b32 s19, 0
	s_cbranch_execz .LBB4_273
	s_branch .LBB4_274
.LBB4_272:                              ;   in Loop: Header=BB4_246 Depth=1
                                        ; implicit-def: $vgpr14_vgpr15
	s_mov_b32 s19, 0
.LBB4_273:                              ;   in Loop: Header=BB4_246 Depth=1
	global_load_dwordx2 v[14:15], v7, s[0:1]
	s_add_i32 s19, s18, -8
.LBB4_274:                              ;   in Loop: Header=BB4_246 Depth=1
	s_add_u32 s0, s14, 8
	s_addc_u32 s1, s15, 0
	s_cmp_gt_u32 s19, 7
	s_cbranch_scc1 .LBB4_279
; %bb.275:                              ;   in Loop: Header=BB4_246 Depth=1
	v_mov_b32_e32 v16, 0
	v_mov_b32_e32 v17, 0
	s_cmp_eq_u32 s19, 0
	s_cbranch_scc1 .LBB4_278
; %bb.276:                              ;   in Loop: Header=BB4_246 Depth=1
	s_mov_b64 s[0:1], 0
	s_mov_b64 s[16:17], 0
.LBB4_277:                              ;   Parent Loop BB4_246 Depth=1
                                        ; =>  This Inner Loop Header: Depth=2
	s_add_u32 s24, s14, s16
	s_addc_u32 s25, s15, s17
	s_add_u32 s16, s16, 1
	global_load_ubyte v6, v7, s[24:25]
	s_addc_u32 s17, s17, 0
	s_waitcnt vmcnt(0)
	v_and_b32_e32 v6, 0xffff, v6
	v_lshlrev_b64 v[18:19], s0, v[6:7]
	s_add_u32 s0, s0, 8
	s_addc_u32 s1, s1, 0
	s_cmp_lg_u32 s19, s16
	v_or_b32_e32 v16, v18, v16
	v_or_b32_e32 v17, v19, v17
	s_cbranch_scc1 .LBB4_277
.LBB4_278:                              ;   in Loop: Header=BB4_246 Depth=1
	s_mov_b64 s[0:1], s[14:15]
	s_mov_b32 s18, 0
	s_cbranch_execz .LBB4_280
	s_branch .LBB4_281
.LBB4_279:                              ;   in Loop: Header=BB4_246 Depth=1
	s_mov_b32 s18, 0
.LBB4_280:                              ;   in Loop: Header=BB4_246 Depth=1
	global_load_dwordx2 v[16:17], v7, s[14:15]
	s_add_i32 s18, s19, -8
.LBB4_281:                              ;   in Loop: Header=BB4_246 Depth=1
	s_add_u32 s14, s0, 8
	s_addc_u32 s15, s1, 0
	s_cmp_gt_u32 s18, 7
	s_cbranch_scc1 .LBB4_286
; %bb.282:                              ;   in Loop: Header=BB4_246 Depth=1
	v_mov_b32_e32 v18, 0
	v_mov_b32_e32 v19, 0
	s_cmp_eq_u32 s18, 0
	s_cbranch_scc1 .LBB4_285
; %bb.283:                              ;   in Loop: Header=BB4_246 Depth=1
	s_mov_b64 s[14:15], 0
	s_mov_b64 s[16:17], 0
.LBB4_284:                              ;   Parent Loop BB4_246 Depth=1
                                        ; =>  This Inner Loop Header: Depth=2
	s_add_u32 s24, s0, s16
	s_addc_u32 s25, s1, s17
	s_add_u32 s16, s16, 1
	global_load_ubyte v6, v7, s[24:25]
	s_addc_u32 s17, s17, 0
	s_waitcnt vmcnt(0)
	v_and_b32_e32 v6, 0xffff, v6
	v_lshlrev_b64 v[20:21], s14, v[6:7]
	s_add_u32 s14, s14, 8
	s_addc_u32 s15, s15, 0
	s_cmp_lg_u32 s18, s16
	v_or_b32_e32 v18, v20, v18
	v_or_b32_e32 v19, v21, v19
	s_cbranch_scc1 .LBB4_284
.LBB4_285:                              ;   in Loop: Header=BB4_246 Depth=1
	s_mov_b64 s[14:15], s[0:1]
	s_mov_b32 s19, 0
	s_cbranch_execz .LBB4_287
	s_branch .LBB4_288
.LBB4_286:                              ;   in Loop: Header=BB4_246 Depth=1
                                        ; implicit-def: $vgpr18_vgpr19
	s_mov_b32 s19, 0
.LBB4_287:                              ;   in Loop: Header=BB4_246 Depth=1
	global_load_dwordx2 v[18:19], v7, s[0:1]
	s_add_i32 s19, s18, -8
.LBB4_288:                              ;   in Loop: Header=BB4_246 Depth=1
	s_cmp_gt_u32 s19, 7
	s_cbranch_scc1 .LBB4_293
; %bb.289:                              ;   in Loop: Header=BB4_246 Depth=1
	v_mov_b32_e32 v20, 0
	v_mov_b32_e32 v21, 0
	s_cmp_eq_u32 s19, 0
	s_cbranch_scc1 .LBB4_292
; %bb.290:                              ;   in Loop: Header=BB4_246 Depth=1
	s_mov_b64 s[0:1], 0
	s_mov_b64 s[16:17], s[14:15]
.LBB4_291:                              ;   Parent Loop BB4_246 Depth=1
                                        ; =>  This Inner Loop Header: Depth=2
	global_load_ubyte v6, v7, s[16:17]
	s_add_i32 s19, s19, -1
	s_waitcnt vmcnt(0)
	v_and_b32_e32 v6, 0xffff, v6
	v_lshlrev_b64 v[22:23], s0, v[6:7]
	s_add_u32 s0, s0, 8
	s_addc_u32 s1, s1, 0
	s_add_u32 s16, s16, 1
	s_addc_u32 s17, s17, 0
	s_cmp_lg_u32 s19, 0
	v_or_b32_e32 v20, v22, v20
	v_or_b32_e32 v21, v23, v21
	s_cbranch_scc1 .LBB4_291
.LBB4_292:                              ;   in Loop: Header=BB4_246 Depth=1
	s_cbranch_execz .LBB4_294
	s_branch .LBB4_295
.LBB4_293:                              ;   in Loop: Header=BB4_246 Depth=1
.LBB4_294:                              ;   in Loop: Header=BB4_246 Depth=1
	global_load_dwordx2 v[20:21], v7, s[14:15]
.LBB4_295:                              ;   in Loop: Header=BB4_246 Depth=1
	v_readfirstlane_b32 s0, v31
	v_mov_b32_e32 v27, 0
	v_mov_b32_e32 v28, 0
	v_cmp_eq_u32_e64 s0, s0, v31
	s_and_saveexec_b32 s1, s0
	s_cbranch_execz .LBB4_301
; %bb.296:                              ;   in Loop: Header=BB4_246 Depth=1
	global_load_dwordx2 v[24:25], v7, s[6:7] offset:24 glc dlc
	s_waitcnt vmcnt(0)
	buffer_gl1_inv
	buffer_gl0_inv
	s_clause 0x1
	global_load_dwordx2 v[22:23], v7, s[6:7] offset:40
	global_load_dwordx2 v[27:28], v7, s[6:7]
	s_mov_b32 s14, exec_lo
	s_waitcnt vmcnt(1)
	v_and_b32_e32 v6, v23, v25
	v_and_b32_e32 v22, v22, v24
	v_mul_lo_u32 v6, v6, 24
	v_mul_hi_u32 v23, v22, 24
	v_mul_lo_u32 v22, v22, 24
	v_add_nc_u32_e32 v6, v23, v6
	s_waitcnt vmcnt(0)
	v_add_co_u32 v22, vcc_lo, v27, v22
	v_add_co_ci_u32_e64 v23, null, v28, v6, vcc_lo
	global_load_dwordx2 v[22:23], v[22:23], off glc dlc
	s_waitcnt vmcnt(0)
	global_atomic_cmpswap_x2 v[27:28], v7, v[22:25], s[6:7] offset:24 glc
	s_waitcnt vmcnt(0)
	buffer_gl1_inv
	buffer_gl0_inv
	v_cmpx_ne_u64_e64 v[27:28], v[24:25]
	s_cbranch_execz .LBB4_300
; %bb.297:                              ;   in Loop: Header=BB4_246 Depth=1
	s_mov_b32 s15, 0
	.p2align	6
.LBB4_298:                              ;   Parent Loop BB4_246 Depth=1
                                        ; =>  This Inner Loop Header: Depth=2
	s_sleep 1
	s_clause 0x1
	global_load_dwordx2 v[22:23], v7, s[6:7] offset:40
	global_load_dwordx2 v[33:34], v7, s[6:7]
	v_mov_b32_e32 v24, v27
	v_mov_b32_e32 v25, v28
	s_waitcnt vmcnt(1)
	v_and_b32_e32 v6, v22, v24
	v_and_b32_e32 v22, v23, v25
	s_waitcnt vmcnt(0)
	v_mad_u64_u32 v[27:28], null, v6, 24, v[33:34]
	v_mov_b32_e32 v6, v28
	v_mad_u64_u32 v[22:23], null, v22, 24, v[6:7]
	v_mov_b32_e32 v28, v22
	global_load_dwordx2 v[22:23], v[27:28], off glc dlc
	s_waitcnt vmcnt(0)
	global_atomic_cmpswap_x2 v[27:28], v7, v[22:25], s[6:7] offset:24 glc
	s_waitcnt vmcnt(0)
	buffer_gl1_inv
	buffer_gl0_inv
	v_cmp_eq_u64_e32 vcc_lo, v[27:28], v[24:25]
	s_or_b32 s15, vcc_lo, s15
	s_andn2_b32 exec_lo, exec_lo, s15
	s_cbranch_execnz .LBB4_298
; %bb.299:                              ;   in Loop: Header=BB4_246 Depth=1
	s_or_b32 exec_lo, exec_lo, s15
.LBB4_300:                              ;   in Loop: Header=BB4_246 Depth=1
	s_or_b32 exec_lo, exec_lo, s14
.LBB4_301:                              ;   in Loop: Header=BB4_246 Depth=1
	s_or_b32 exec_lo, exec_lo, s1
	s_clause 0x1
	global_load_dwordx2 v[33:34], v7, s[6:7] offset:40
	global_load_dwordx4 v[22:25], v7, s[6:7]
	v_readfirstlane_b32 s15, v28
	v_readfirstlane_b32 s14, v27
	s_mov_b32 s1, exec_lo
	s_waitcnt vmcnt(1)
	v_readfirstlane_b32 s16, v33
	v_readfirstlane_b32 s17, v34
	s_and_b64 s[16:17], s[16:17], s[14:15]
	s_mul_i32 s18, s17, 24
	s_mul_hi_u32 s19, s16, 24
	s_mul_i32 s24, s16, 24
	s_add_i32 s19, s19, s18
	s_waitcnt vmcnt(0)
	v_add_co_u32 v27, vcc_lo, v22, s24
	v_add_co_ci_u32_e64 v28, null, s19, v23, vcc_lo
	s_and_saveexec_b32 s18, s0
	s_cbranch_execz .LBB4_303
; %bb.302:                              ;   in Loop: Header=BB4_246 Depth=1
	v_mov_b32_e32 v6, s1
	global_store_dwordx4 v[27:28], v[6:9], off offset:8
.LBB4_303:                              ;   in Loop: Header=BB4_246 Depth=1
	s_or_b32 exec_lo, exec_lo, s18
	v_cmp_lt_u64_e64 vcc_lo, s[10:11], 57
	s_lshl_b64 s[16:17], s[16:17], 12
	v_and_b32_e32 v2, 0xffffff1f, v2
	s_lshl_b32 s1, s12, 2
	s_add_i32 s1, s1, 28
	v_cndmask_b32_e32 v6, 0, v32, vcc_lo
	v_add_co_u32 v24, vcc_lo, v24, s16
	v_add_co_ci_u32_e64 v25, null, s17, v25, vcc_lo
	v_or_b32_e32 v2, v2, v6
	v_readfirstlane_b32 s16, v24
	v_readfirstlane_b32 s17, v25
	v_and_or_b32 v2, 0x1e0, s1, v2
	global_store_dwordx4 v30, v[10:13], s[16:17] offset:16
	global_store_dwordx4 v30, v[2:5], s[16:17]
	global_store_dwordx4 v30, v[14:17], s[16:17] offset:32
	global_store_dwordx4 v30, v[18:21], s[16:17] offset:48
	s_and_saveexec_b32 s1, s0
	s_cbranch_execz .LBB4_311
; %bb.304:                              ;   in Loop: Header=BB4_246 Depth=1
	s_clause 0x1
	global_load_dwordx2 v[14:15], v7, s[6:7] offset:32 glc dlc
	global_load_dwordx2 v[2:3], v7, s[6:7] offset:40
	v_mov_b32_e32 v12, s14
	v_mov_b32_e32 v13, s15
	s_waitcnt vmcnt(0)
	v_readfirstlane_b32 s16, v2
	v_readfirstlane_b32 s17, v3
	s_and_b64 s[16:17], s[16:17], s[14:15]
	s_mul_i32 s17, s17, 24
	s_mul_hi_u32 s18, s16, 24
	s_mul_i32 s16, s16, 24
	s_add_i32 s18, s18, s17
	v_add_co_u32 v10, vcc_lo, v22, s16
	v_add_co_ci_u32_e64 v11, null, s18, v23, vcc_lo
	s_mov_b32 s16, exec_lo
	global_store_dwordx2 v[10:11], v[14:15], off
	s_waitcnt_vscnt null, 0x0
	global_atomic_cmpswap_x2 v[4:5], v7, v[12:15], s[6:7] offset:32 glc
	s_waitcnt vmcnt(0)
	v_cmpx_ne_u64_e64 v[4:5], v[14:15]
	s_cbranch_execz .LBB4_307
; %bb.305:                              ;   in Loop: Header=BB4_246 Depth=1
	s_mov_b32 s17, 0
.LBB4_306:                              ;   Parent Loop BB4_246 Depth=1
                                        ; =>  This Inner Loop Header: Depth=2
	v_mov_b32_e32 v2, s14
	v_mov_b32_e32 v3, s15
	s_sleep 1
	global_store_dwordx2 v[10:11], v[4:5], off
	s_waitcnt_vscnt null, 0x0
	global_atomic_cmpswap_x2 v[2:3], v7, v[2:5], s[6:7] offset:32 glc
	s_waitcnt vmcnt(0)
	v_cmp_eq_u64_e32 vcc_lo, v[2:3], v[4:5]
	v_mov_b32_e32 v5, v3
	v_mov_b32_e32 v4, v2
	s_or_b32 s17, vcc_lo, s17
	s_andn2_b32 exec_lo, exec_lo, s17
	s_cbranch_execnz .LBB4_306
.LBB4_307:                              ;   in Loop: Header=BB4_246 Depth=1
	s_or_b32 exec_lo, exec_lo, s16
	global_load_dwordx2 v[2:3], v7, s[6:7] offset:16
	s_mov_b32 s17, exec_lo
	s_mov_b32 s16, exec_lo
	v_mbcnt_lo_u32_b32 v4, s17, 0
	v_cmpx_eq_u32_e32 0, v4
	s_cbranch_execz .LBB4_309
; %bb.308:                              ;   in Loop: Header=BB4_246 Depth=1
	s_bcnt1_i32_b32 s17, s17
	v_mov_b32_e32 v6, s17
	s_waitcnt vmcnt(0)
	global_atomic_add_x2 v[2:3], v[6:7], off offset:8
.LBB4_309:                              ;   in Loop: Header=BB4_246 Depth=1
	s_or_b32 exec_lo, exec_lo, s16
	s_waitcnt vmcnt(0)
	global_load_dwordx2 v[4:5], v[2:3], off offset:16
	s_waitcnt vmcnt(0)
	v_cmp_eq_u64_e32 vcc_lo, 0, v[4:5]
	s_cbranch_vccnz .LBB4_311
; %bb.310:                              ;   in Loop: Header=BB4_246 Depth=1
	global_load_dword v6, v[2:3], off offset:24
	s_waitcnt vmcnt(0)
	v_readfirstlane_b32 s16, v6
	s_waitcnt_vscnt null, 0x0
	global_store_dwordx2 v[4:5], v[6:7], off
	s_and_b32 m0, s16, 0x7fffff
	s_sendmsg sendmsg(MSG_INTERRUPT)
.LBB4_311:                              ;   in Loop: Header=BB4_246 Depth=1
	s_or_b32 exec_lo, exec_lo, s1
	v_add_co_u32 v2, vcc_lo, v24, v30
	v_add_co_ci_u32_e64 v3, null, 0, v25, vcc_lo
	s_branch .LBB4_315
	.p2align	6
.LBB4_312:                              ;   in Loop: Header=BB4_315 Depth=2
	s_or_b32 exec_lo, exec_lo, s1
	v_readfirstlane_b32 s1, v4
	s_cmp_eq_u32 s1, 0
	s_cbranch_scc1 .LBB4_314
; %bb.313:                              ;   in Loop: Header=BB4_315 Depth=2
	s_sleep 1
	s_cbranch_execnz .LBB4_315
	s_branch .LBB4_317
	.p2align	6
.LBB4_314:                              ;   in Loop: Header=BB4_246 Depth=1
	s_branch .LBB4_317
.LBB4_315:                              ;   Parent Loop BB4_246 Depth=1
                                        ; =>  This Inner Loop Header: Depth=2
	v_mov_b32_e32 v4, 1
	s_and_saveexec_b32 s1, s0
	s_cbranch_execz .LBB4_312
; %bb.316:                              ;   in Loop: Header=BB4_315 Depth=2
	global_load_dword v4, v[27:28], off offset:20 glc dlc
	s_waitcnt vmcnt(0)
	buffer_gl1_inv
	buffer_gl0_inv
	v_and_b32_e32 v4, 1, v4
	s_branch .LBB4_312
.LBB4_317:                              ;   in Loop: Header=BB4_246 Depth=1
	global_load_dwordx2 v[2:3], v[2:3], off
	s_and_saveexec_b32 s16, s0
	s_cbranch_execz .LBB4_245
; %bb.318:                              ;   in Loop: Header=BB4_246 Depth=1
	s_clause 0x2
	global_load_dwordx2 v[4:5], v7, s[6:7] offset:40
	global_load_dwordx2 v[14:15], v7, s[6:7] offset:24 glc dlc
	global_load_dwordx2 v[10:11], v7, s[6:7]
	s_waitcnt vmcnt(2)
	v_readfirstlane_b32 s18, v4
	v_readfirstlane_b32 s19, v5
	s_add_u32 s17, s18, 1
	s_addc_u32 s24, s19, 0
	s_add_u32 s0, s17, s14
	s_addc_u32 s1, s24, s15
	s_cmp_eq_u64 s[0:1], 0
	s_cselect_b32 s1, s24, s1
	s_cselect_b32 s0, s17, s0
	v_mov_b32_e32 v13, s1
	s_and_b64 s[14:15], s[0:1], s[18:19]
	v_mov_b32_e32 v12, s0
	s_mul_i32 s15, s15, 24
	s_mul_hi_u32 s17, s14, 24
	s_mul_i32 s14, s14, 24
	s_add_i32 s17, s17, s15
	s_waitcnt vmcnt(0)
	v_add_co_u32 v4, vcc_lo, v10, s14
	v_add_co_ci_u32_e64 v5, null, s17, v11, vcc_lo
	global_store_dwordx2 v[4:5], v[14:15], off
	s_waitcnt_vscnt null, 0x0
	global_atomic_cmpswap_x2 v[12:13], v7, v[12:15], s[6:7] offset:24 glc
	s_waitcnt vmcnt(0)
	v_cmp_ne_u64_e32 vcc_lo, v[12:13], v[14:15]
	s_and_b32 exec_lo, exec_lo, vcc_lo
	s_cbranch_execz .LBB4_245
; %bb.319:                              ;   in Loop: Header=BB4_246 Depth=1
	s_mov_b32 s14, 0
.LBB4_320:                              ;   Parent Loop BB4_246 Depth=1
                                        ; =>  This Inner Loop Header: Depth=2
	v_mov_b32_e32 v10, s0
	v_mov_b32_e32 v11, s1
	s_sleep 1
	global_store_dwordx2 v[4:5], v[12:13], off
	s_waitcnt_vscnt null, 0x0
	global_atomic_cmpswap_x2 v[10:11], v7, v[10:13], s[6:7] offset:24 glc
	s_waitcnt vmcnt(0)
	v_cmp_eq_u64_e32 vcc_lo, v[10:11], v[12:13]
	v_mov_b32_e32 v13, v11
	v_mov_b32_e32 v12, v10
	s_or_b32 s14, vcc_lo, s14
	s_andn2_b32 exec_lo, exec_lo, s14
	s_cbranch_execnz .LBB4_320
	s_branch .LBB4_245
.LBB4_321:
	s_branch .LBB4_350
.LBB4_322:
                                        ; implicit-def: $vgpr2_vgpr3
	s_cbranch_execz .LBB4_350
; %bb.323:
	v_readfirstlane_b32 s0, v31
	v_mov_b32_e32 v8, 0
	v_mov_b32_e32 v9, 0
	v_cmp_eq_u32_e64 s0, s0, v31
	s_and_saveexec_b32 s1, s0
	s_cbranch_execz .LBB4_329
; %bb.324:
	s_waitcnt vmcnt(0)
	v_mov_b32_e32 v2, 0
	s_mov_b32 s8, exec_lo
	global_load_dwordx2 v[5:6], v2, s[6:7] offset:24 glc dlc
	s_waitcnt vmcnt(0)
	buffer_gl1_inv
	buffer_gl0_inv
	s_clause 0x1
	global_load_dwordx2 v[3:4], v2, s[6:7] offset:40
	global_load_dwordx2 v[7:8], v2, s[6:7]
	s_waitcnt vmcnt(1)
	v_and_b32_e32 v4, v4, v6
	v_and_b32_e32 v3, v3, v5
	v_mul_lo_u32 v4, v4, 24
	v_mul_hi_u32 v9, v3, 24
	v_mul_lo_u32 v3, v3, 24
	v_add_nc_u32_e32 v4, v9, v4
	s_waitcnt vmcnt(0)
	v_add_co_u32 v3, vcc_lo, v7, v3
	v_add_co_ci_u32_e64 v4, null, v8, v4, vcc_lo
	global_load_dwordx2 v[3:4], v[3:4], off glc dlc
	s_waitcnt vmcnt(0)
	global_atomic_cmpswap_x2 v[8:9], v2, v[3:6], s[6:7] offset:24 glc
	s_waitcnt vmcnt(0)
	buffer_gl1_inv
	buffer_gl0_inv
	v_cmpx_ne_u64_e64 v[8:9], v[5:6]
	s_cbranch_execz .LBB4_328
; %bb.325:
	s_mov_b32 s9, 0
	.p2align	6
.LBB4_326:                              ; =>This Inner Loop Header: Depth=1
	s_sleep 1
	s_clause 0x1
	global_load_dwordx2 v[3:4], v2, s[6:7] offset:40
	global_load_dwordx2 v[10:11], v2, s[6:7]
	v_mov_b32_e32 v5, v8
	v_mov_b32_e32 v6, v9
	s_waitcnt vmcnt(1)
	v_and_b32_e32 v3, v3, v5
	v_and_b32_e32 v4, v4, v6
	s_waitcnt vmcnt(0)
	v_mad_u64_u32 v[7:8], null, v3, 24, v[10:11]
	v_mov_b32_e32 v3, v8
	v_mad_u64_u32 v[3:4], null, v4, 24, v[3:4]
	v_mov_b32_e32 v8, v3
	global_load_dwordx2 v[3:4], v[7:8], off glc dlc
	s_waitcnt vmcnt(0)
	global_atomic_cmpswap_x2 v[8:9], v2, v[3:6], s[6:7] offset:24 glc
	s_waitcnt vmcnt(0)
	buffer_gl1_inv
	buffer_gl0_inv
	v_cmp_eq_u64_e32 vcc_lo, v[8:9], v[5:6]
	s_or_b32 s9, vcc_lo, s9
	s_andn2_b32 exec_lo, exec_lo, s9
	s_cbranch_execnz .LBB4_326
; %bb.327:
	s_or_b32 exec_lo, exec_lo, s9
.LBB4_328:
	s_or_b32 exec_lo, exec_lo, s8
.LBB4_329:
	s_or_b32 exec_lo, exec_lo, s1
	s_waitcnt vmcnt(0)
	v_mov_b32_e32 v2, 0
	v_readfirstlane_b32 s9, v9
	v_readfirstlane_b32 s8, v8
	s_mov_b32 s1, exec_lo
	s_clause 0x1
	global_load_dwordx2 v[10:11], v2, s[6:7] offset:40
	global_load_dwordx4 v[4:7], v2, s[6:7]
	s_waitcnt vmcnt(1)
	v_readfirstlane_b32 s10, v10
	v_readfirstlane_b32 s11, v11
	s_and_b64 s[10:11], s[10:11], s[8:9]
	s_mul_i32 s12, s11, 24
	s_mul_hi_u32 s13, s10, 24
	s_mul_i32 s14, s10, 24
	s_add_i32 s13, s13, s12
	s_waitcnt vmcnt(0)
	v_add_co_u32 v8, vcc_lo, v4, s14
	v_add_co_ci_u32_e64 v9, null, s13, v5, vcc_lo
	s_and_saveexec_b32 s12, s0
	s_cbranch_execz .LBB4_331
; %bb.330:
	v_mov_b32_e32 v10, s1
	v_mov_b32_e32 v11, v2
	;; [unrolled: 1-line block ×4, first 2 shown]
	global_store_dwordx4 v[8:9], v[10:13], off offset:8
.LBB4_331:
	s_or_b32 exec_lo, exec_lo, s12
	s_lshl_b64 s[10:11], s[10:11], 12
	s_mov_b32 s12, 0
	v_add_co_u32 v6, vcc_lo, v6, s10
	v_add_co_ci_u32_e64 v7, null, s11, v7, vcc_lo
	s_mov_b32 s13, s12
	v_readfirstlane_b32 s10, v6
	v_add_co_u32 v6, vcc_lo, v6, v30
	s_mov_b32 s14, s12
	s_mov_b32 s15, s12
	v_and_or_b32 v0, 0xffffff1f, v0, 32
	v_mov_b32_e32 v3, v2
	v_readfirstlane_b32 s11, v7
	v_mov_b32_e32 v10, s12
	v_add_co_ci_u32_e64 v7, null, 0, v7, vcc_lo
	v_mov_b32_e32 v11, s13
	v_mov_b32_e32 v12, s14
	;; [unrolled: 1-line block ×3, first 2 shown]
	global_store_dwordx4 v30, v[0:3], s[10:11]
	global_store_dwordx4 v30, v[10:13], s[10:11] offset:16
	global_store_dwordx4 v30, v[10:13], s[10:11] offset:32
	;; [unrolled: 1-line block ×3, first 2 shown]
	s_and_saveexec_b32 s1, s0
	s_cbranch_execz .LBB4_339
; %bb.332:
	v_mov_b32_e32 v10, 0
	v_mov_b32_e32 v11, s8
	;; [unrolled: 1-line block ×3, first 2 shown]
	s_clause 0x1
	global_load_dwordx2 v[13:14], v10, s[6:7] offset:32 glc dlc
	global_load_dwordx2 v[0:1], v10, s[6:7] offset:40
	s_waitcnt vmcnt(0)
	v_readfirstlane_b32 s10, v0
	v_readfirstlane_b32 s11, v1
	s_and_b64 s[10:11], s[10:11], s[8:9]
	s_mul_i32 s11, s11, 24
	s_mul_hi_u32 s12, s10, 24
	s_mul_i32 s10, s10, 24
	s_add_i32 s12, s12, s11
	v_add_co_u32 v4, vcc_lo, v4, s10
	v_add_co_ci_u32_e64 v5, null, s12, v5, vcc_lo
	s_mov_b32 s10, exec_lo
	global_store_dwordx2 v[4:5], v[13:14], off
	s_waitcnt_vscnt null, 0x0
	global_atomic_cmpswap_x2 v[2:3], v10, v[11:14], s[6:7] offset:32 glc
	s_waitcnt vmcnt(0)
	v_cmpx_ne_u64_e64 v[2:3], v[13:14]
	s_cbranch_execz .LBB4_335
; %bb.333:
	s_mov_b32 s11, 0
.LBB4_334:                              ; =>This Inner Loop Header: Depth=1
	v_mov_b32_e32 v0, s8
	v_mov_b32_e32 v1, s9
	s_sleep 1
	global_store_dwordx2 v[4:5], v[2:3], off
	s_waitcnt_vscnt null, 0x0
	global_atomic_cmpswap_x2 v[0:1], v10, v[0:3], s[6:7] offset:32 glc
	s_waitcnt vmcnt(0)
	v_cmp_eq_u64_e32 vcc_lo, v[0:1], v[2:3]
	v_mov_b32_e32 v3, v1
	v_mov_b32_e32 v2, v0
	s_or_b32 s11, vcc_lo, s11
	s_andn2_b32 exec_lo, exec_lo, s11
	s_cbranch_execnz .LBB4_334
.LBB4_335:
	s_or_b32 exec_lo, exec_lo, s10
	v_mov_b32_e32 v3, 0
	s_mov_b32 s11, exec_lo
	s_mov_b32 s10, exec_lo
	v_mbcnt_lo_u32_b32 v2, s11, 0
	global_load_dwordx2 v[0:1], v3, s[6:7] offset:16
	v_cmpx_eq_u32_e32 0, v2
	s_cbranch_execz .LBB4_337
; %bb.336:
	s_bcnt1_i32_b32 s11, s11
	v_mov_b32_e32 v2, s11
	s_waitcnt vmcnt(0)
	global_atomic_add_x2 v[0:1], v[2:3], off offset:8
.LBB4_337:
	s_or_b32 exec_lo, exec_lo, s10
	s_waitcnt vmcnt(0)
	global_load_dwordx2 v[2:3], v[0:1], off offset:16
	s_waitcnt vmcnt(0)
	v_cmp_eq_u64_e32 vcc_lo, 0, v[2:3]
	s_cbranch_vccnz .LBB4_339
; %bb.338:
	global_load_dword v0, v[0:1], off offset:24
	v_mov_b32_e32 v1, 0
	s_waitcnt vmcnt(0)
	v_readfirstlane_b32 s10, v0
	s_waitcnt_vscnt null, 0x0
	global_store_dwordx2 v[2:3], v[0:1], off
	s_and_b32 m0, s10, 0x7fffff
	s_sendmsg sendmsg(MSG_INTERRUPT)
.LBB4_339:
	s_or_b32 exec_lo, exec_lo, s1
	s_branch .LBB4_343
	.p2align	6
.LBB4_340:                              ;   in Loop: Header=BB4_343 Depth=1
	s_or_b32 exec_lo, exec_lo, s1
	v_readfirstlane_b32 s1, v0
	s_cmp_eq_u32 s1, 0
	s_cbranch_scc1 .LBB4_342
; %bb.341:                              ;   in Loop: Header=BB4_343 Depth=1
	s_sleep 1
	s_cbranch_execnz .LBB4_343
	s_branch .LBB4_345
	.p2align	6
.LBB4_342:
	s_branch .LBB4_345
.LBB4_343:                              ; =>This Inner Loop Header: Depth=1
	v_mov_b32_e32 v0, 1
	s_and_saveexec_b32 s1, s0
	s_cbranch_execz .LBB4_340
; %bb.344:                              ;   in Loop: Header=BB4_343 Depth=1
	global_load_dword v0, v[8:9], off offset:20 glc dlc
	s_waitcnt vmcnt(0)
	buffer_gl1_inv
	buffer_gl0_inv
	v_and_b32_e32 v0, 1, v0
	s_branch .LBB4_340
.LBB4_345:
	global_load_dwordx2 v[2:3], v[6:7], off
	s_and_saveexec_b32 s10, s0
	s_cbranch_execz .LBB4_349
; %bb.346:
	v_mov_b32_e32 v8, 0
	s_clause 0x2
	global_load_dwordx2 v[0:1], v8, s[6:7] offset:40
	global_load_dwordx2 v[11:12], v8, s[6:7] offset:24 glc dlc
	global_load_dwordx2 v[4:5], v8, s[6:7]
	s_waitcnt vmcnt(2)
	v_readfirstlane_b32 s12, v0
	v_readfirstlane_b32 s13, v1
	s_add_u32 s11, s12, 1
	s_addc_u32 s14, s13, 0
	s_add_u32 s0, s11, s8
	s_addc_u32 s1, s14, s9
	s_cmp_eq_u64 s[0:1], 0
	s_cselect_b32 s1, s14, s1
	s_cselect_b32 s0, s11, s0
	v_mov_b32_e32 v10, s1
	s_and_b64 s[8:9], s[0:1], s[12:13]
	v_mov_b32_e32 v9, s0
	s_mul_i32 s9, s9, 24
	s_mul_hi_u32 s11, s8, 24
	s_mul_i32 s8, s8, 24
	s_add_i32 s11, s11, s9
	s_waitcnt vmcnt(0)
	v_add_co_u32 v0, vcc_lo, v4, s8
	v_add_co_ci_u32_e64 v1, null, s11, v5, vcc_lo
	global_store_dwordx2 v[0:1], v[11:12], off
	s_waitcnt_vscnt null, 0x0
	global_atomic_cmpswap_x2 v[6:7], v8, v[9:12], s[6:7] offset:24 glc
	s_waitcnt vmcnt(0)
	v_cmp_ne_u64_e32 vcc_lo, v[6:7], v[11:12]
	s_and_b32 exec_lo, exec_lo, vcc_lo
	s_cbranch_execz .LBB4_349
; %bb.347:
	s_mov_b32 s8, 0
.LBB4_348:                              ; =>This Inner Loop Header: Depth=1
	v_mov_b32_e32 v4, s0
	v_mov_b32_e32 v5, s1
	s_sleep 1
	global_store_dwordx2 v[0:1], v[6:7], off
	s_waitcnt_vscnt null, 0x0
	global_atomic_cmpswap_x2 v[4:5], v8, v[4:7], s[6:7] offset:24 glc
	s_waitcnt vmcnt(0)
	v_cmp_eq_u64_e32 vcc_lo, v[4:5], v[6:7]
	v_mov_b32_e32 v7, v5
	v_mov_b32_e32 v6, v4
	s_or_b32 s8, vcc_lo, s8
	s_andn2_b32 exec_lo, exec_lo, s8
	s_cbranch_execnz .LBB4_348
.LBB4_349:
	s_or_b32 exec_lo, exec_lo, s10
.LBB4_350:
	v_readfirstlane_b32 s0, v31
	s_waitcnt vmcnt(0)
	v_mov_b32_e32 v0, 0
	v_mov_b32_e32 v1, 0
	v_cmp_eq_u32_e64 s0, s0, v31
	s_and_saveexec_b32 s1, s0
	s_cbranch_execz .LBB4_356
; %bb.351:
	v_mov_b32_e32 v4, 0
	s_mov_b32 s8, exec_lo
	global_load_dwordx2 v[7:8], v4, s[6:7] offset:24 glc dlc
	s_waitcnt vmcnt(0)
	buffer_gl1_inv
	buffer_gl0_inv
	s_clause 0x1
	global_load_dwordx2 v[0:1], v4, s[6:7] offset:40
	global_load_dwordx2 v[5:6], v4, s[6:7]
	s_waitcnt vmcnt(1)
	v_and_b32_e32 v1, v1, v8
	v_and_b32_e32 v0, v0, v7
	v_mul_lo_u32 v1, v1, 24
	v_mul_hi_u32 v9, v0, 24
	v_mul_lo_u32 v0, v0, 24
	v_add_nc_u32_e32 v1, v9, v1
	s_waitcnt vmcnt(0)
	v_add_co_u32 v0, vcc_lo, v5, v0
	v_add_co_ci_u32_e64 v1, null, v6, v1, vcc_lo
	global_load_dwordx2 v[5:6], v[0:1], off glc dlc
	s_waitcnt vmcnt(0)
	global_atomic_cmpswap_x2 v[0:1], v4, v[5:8], s[6:7] offset:24 glc
	s_waitcnt vmcnt(0)
	buffer_gl1_inv
	buffer_gl0_inv
	v_cmpx_ne_u64_e64 v[0:1], v[7:8]
	s_cbranch_execz .LBB4_355
; %bb.352:
	s_mov_b32 s9, 0
	.p2align	6
.LBB4_353:                              ; =>This Inner Loop Header: Depth=1
	s_sleep 1
	s_clause 0x1
	global_load_dwordx2 v[5:6], v4, s[6:7] offset:40
	global_load_dwordx2 v[9:10], v4, s[6:7]
	v_mov_b32_e32 v8, v1
	v_mov_b32_e32 v7, v0
	s_waitcnt vmcnt(1)
	v_and_b32_e32 v0, v5, v7
	v_and_b32_e32 v5, v6, v8
	s_waitcnt vmcnt(0)
	v_mad_u64_u32 v[0:1], null, v0, 24, v[9:10]
	v_mad_u64_u32 v[5:6], null, v5, 24, v[1:2]
	v_mov_b32_e32 v1, v5
	global_load_dwordx2 v[5:6], v[0:1], off glc dlc
	s_waitcnt vmcnt(0)
	global_atomic_cmpswap_x2 v[0:1], v4, v[5:8], s[6:7] offset:24 glc
	s_waitcnt vmcnt(0)
	buffer_gl1_inv
	buffer_gl0_inv
	v_cmp_eq_u64_e32 vcc_lo, v[0:1], v[7:8]
	s_or_b32 s9, vcc_lo, s9
	s_andn2_b32 exec_lo, exec_lo, s9
	s_cbranch_execnz .LBB4_353
; %bb.354:
	s_or_b32 exec_lo, exec_lo, s9
.LBB4_355:
	s_or_b32 exec_lo, exec_lo, s8
.LBB4_356:
	s_or_b32 exec_lo, exec_lo, s1
	v_mov_b32_e32 v5, 0
	v_readfirstlane_b32 s9, v1
	v_readfirstlane_b32 s8, v0
	s_mov_b32 s1, exec_lo
	s_clause 0x1
	global_load_dwordx2 v[10:11], v5, s[6:7] offset:40
	global_load_dwordx4 v[6:9], v5, s[6:7]
	s_waitcnt vmcnt(1)
	v_readfirstlane_b32 s10, v10
	v_readfirstlane_b32 s11, v11
	s_and_b64 s[10:11], s[10:11], s[8:9]
	s_mul_i32 s12, s11, 24
	s_mul_hi_u32 s13, s10, 24
	s_mul_i32 s14, s10, 24
	s_add_i32 s13, s13, s12
	s_waitcnt vmcnt(0)
	v_add_co_u32 v10, vcc_lo, v6, s14
	v_add_co_ci_u32_e64 v11, null, s13, v7, vcc_lo
	s_and_saveexec_b32 s12, s0
	s_cbranch_execz .LBB4_358
; %bb.357:
	v_mov_b32_e32 v4, s1
	v_mov_b32_e32 v13, v5
	;; [unrolled: 1-line block ×5, first 2 shown]
	global_store_dwordx4 v[10:11], v[12:15], off offset:8
.LBB4_358:
	s_or_b32 exec_lo, exec_lo, s12
	s_lshl_b64 s[10:11], s[10:11], 12
	s_mov_b32 s12, 0
	v_add_co_u32 v0, vcc_lo, v8, s10
	v_add_co_ci_u32_e64 v1, null, s11, v9, vcc_lo
	s_lshr_b32 s1, s20, 3
	v_add_co_u32 v8, vcc_lo, v0, v30
	s_mov_b32 s13, s12
	s_mov_b32 s14, s12
	;; [unrolled: 1-line block ×3, first 2 shown]
	v_and_or_b32 v2, 0xffffff1f, v2, 32
	v_mov_b32_e32 v4, s1
	v_readfirstlane_b32 s10, v0
	v_readfirstlane_b32 s11, v1
	v_mov_b32_e32 v12, s12
	v_add_co_ci_u32_e64 v9, null, 0, v1, vcc_lo
	v_mov_b32_e32 v13, s13
	v_mov_b32_e32 v14, s14
	;; [unrolled: 1-line block ×3, first 2 shown]
	global_store_dwordx4 v30, v[2:5], s[10:11]
	global_store_dwordx4 v30, v[12:15], s[10:11] offset:16
	global_store_dwordx4 v30, v[12:15], s[10:11] offset:32
	;; [unrolled: 1-line block ×3, first 2 shown]
	s_and_saveexec_b32 s1, s0
	s_cbranch_execz .LBB4_366
; %bb.359:
	v_mov_b32_e32 v12, 0
	v_mov_b32_e32 v13, s8
	;; [unrolled: 1-line block ×3, first 2 shown]
	s_clause 0x1
	global_load_dwordx2 v[15:16], v12, s[6:7] offset:32 glc dlc
	global_load_dwordx2 v[0:1], v12, s[6:7] offset:40
	s_waitcnt vmcnt(0)
	v_readfirstlane_b32 s10, v0
	v_readfirstlane_b32 s11, v1
	s_and_b64 s[10:11], s[10:11], s[8:9]
	s_mul_i32 s11, s11, 24
	s_mul_hi_u32 s12, s10, 24
	s_mul_i32 s10, s10, 24
	s_add_i32 s12, s12, s11
	v_add_co_u32 v4, vcc_lo, v6, s10
	v_add_co_ci_u32_e64 v5, null, s12, v7, vcc_lo
	s_mov_b32 s10, exec_lo
	global_store_dwordx2 v[4:5], v[15:16], off
	s_waitcnt_vscnt null, 0x0
	global_atomic_cmpswap_x2 v[2:3], v12, v[13:16], s[6:7] offset:32 glc
	s_waitcnt vmcnt(0)
	v_cmpx_ne_u64_e64 v[2:3], v[15:16]
	s_cbranch_execz .LBB4_362
; %bb.360:
	s_mov_b32 s11, 0
.LBB4_361:                              ; =>This Inner Loop Header: Depth=1
	v_mov_b32_e32 v0, s8
	v_mov_b32_e32 v1, s9
	s_sleep 1
	global_store_dwordx2 v[4:5], v[2:3], off
	s_waitcnt_vscnt null, 0x0
	global_atomic_cmpswap_x2 v[0:1], v12, v[0:3], s[6:7] offset:32 glc
	s_waitcnt vmcnt(0)
	v_cmp_eq_u64_e32 vcc_lo, v[0:1], v[2:3]
	v_mov_b32_e32 v3, v1
	v_mov_b32_e32 v2, v0
	s_or_b32 s11, vcc_lo, s11
	s_andn2_b32 exec_lo, exec_lo, s11
	s_cbranch_execnz .LBB4_361
.LBB4_362:
	s_or_b32 exec_lo, exec_lo, s10
	v_mov_b32_e32 v3, 0
	s_mov_b32 s11, exec_lo
	s_mov_b32 s10, exec_lo
	v_mbcnt_lo_u32_b32 v2, s11, 0
	global_load_dwordx2 v[0:1], v3, s[6:7] offset:16
	v_cmpx_eq_u32_e32 0, v2
	s_cbranch_execz .LBB4_364
; %bb.363:
	s_bcnt1_i32_b32 s11, s11
	v_mov_b32_e32 v2, s11
	s_waitcnt vmcnt(0)
	global_atomic_add_x2 v[0:1], v[2:3], off offset:8
.LBB4_364:
	s_or_b32 exec_lo, exec_lo, s10
	s_waitcnt vmcnt(0)
	global_load_dwordx2 v[2:3], v[0:1], off offset:16
	s_waitcnt vmcnt(0)
	v_cmp_eq_u64_e32 vcc_lo, 0, v[2:3]
	s_cbranch_vccnz .LBB4_366
; %bb.365:
	global_load_dword v0, v[0:1], off offset:24
	v_mov_b32_e32 v1, 0
	s_waitcnt vmcnt(0)
	v_readfirstlane_b32 s10, v0
	s_waitcnt_vscnt null, 0x0
	global_store_dwordx2 v[2:3], v[0:1], off
	s_and_b32 m0, s10, 0x7fffff
	s_sendmsg sendmsg(MSG_INTERRUPT)
.LBB4_366:
	s_or_b32 exec_lo, exec_lo, s1
	s_branch .LBB4_370
	.p2align	6
.LBB4_367:                              ;   in Loop: Header=BB4_370 Depth=1
	s_or_b32 exec_lo, exec_lo, s1
	v_readfirstlane_b32 s1, v0
	s_cmp_eq_u32 s1, 0
	s_cbranch_scc1 .LBB4_369
; %bb.368:                              ;   in Loop: Header=BB4_370 Depth=1
	s_sleep 1
	s_cbranch_execnz .LBB4_370
	s_branch .LBB4_372
	.p2align	6
.LBB4_369:
	s_branch .LBB4_372
.LBB4_370:                              ; =>This Inner Loop Header: Depth=1
	v_mov_b32_e32 v0, 1
	s_and_saveexec_b32 s1, s0
	s_cbranch_execz .LBB4_367
; %bb.371:                              ;   in Loop: Header=BB4_370 Depth=1
	global_load_dword v0, v[10:11], off offset:20 glc dlc
	s_waitcnt vmcnt(0)
	buffer_gl1_inv
	buffer_gl0_inv
	v_and_b32_e32 v0, 1, v0
	s_branch .LBB4_367
.LBB4_372:
	global_load_dwordx2 v[0:1], v[8:9], off
	s_and_saveexec_b32 s10, s0
	s_cbranch_execz .LBB4_376
; %bb.373:
	v_mov_b32_e32 v8, 0
	s_clause 0x2
	global_load_dwordx2 v[2:3], v8, s[6:7] offset:40
	global_load_dwordx2 v[11:12], v8, s[6:7] offset:24 glc dlc
	global_load_dwordx2 v[4:5], v8, s[6:7]
	s_waitcnt vmcnt(2)
	v_readfirstlane_b32 s12, v2
	v_readfirstlane_b32 s13, v3
	s_add_u32 s11, s12, 1
	s_addc_u32 s14, s13, 0
	s_add_u32 s0, s11, s8
	s_addc_u32 s1, s14, s9
	s_cmp_eq_u64 s[0:1], 0
	s_cselect_b32 s1, s14, s1
	s_cselect_b32 s0, s11, s0
	v_mov_b32_e32 v10, s1
	s_and_b64 s[8:9], s[0:1], s[12:13]
	v_mov_b32_e32 v9, s0
	s_mul_i32 s9, s9, 24
	s_mul_hi_u32 s11, s8, 24
	s_mul_i32 s8, s8, 24
	s_add_i32 s11, s11, s9
	s_waitcnt vmcnt(0)
	v_add_co_u32 v6, vcc_lo, v4, s8
	v_add_co_ci_u32_e64 v7, null, s11, v5, vcc_lo
	global_store_dwordx2 v[6:7], v[11:12], off
	s_waitcnt_vscnt null, 0x0
	global_atomic_cmpswap_x2 v[4:5], v8, v[9:12], s[6:7] offset:24 glc
	s_waitcnt vmcnt(0)
	v_cmp_ne_u64_e32 vcc_lo, v[4:5], v[11:12]
	s_and_b32 exec_lo, exec_lo, vcc_lo
	s_cbranch_execz .LBB4_376
; %bb.374:
	s_mov_b32 s8, 0
.LBB4_375:                              ; =>This Inner Loop Header: Depth=1
	v_mov_b32_e32 v2, s0
	v_mov_b32_e32 v3, s1
	s_sleep 1
	global_store_dwordx2 v[6:7], v[4:5], off
	s_waitcnt_vscnt null, 0x0
	global_atomic_cmpswap_x2 v[2:3], v8, v[2:5], s[6:7] offset:24 glc
	s_waitcnt vmcnt(0)
	v_cmp_eq_u64_e32 vcc_lo, v[2:3], v[4:5]
	v_mov_b32_e32 v5, v3
	v_mov_b32_e32 v4, v2
	s_or_b32 s8, vcc_lo, s8
	s_andn2_b32 exec_lo, exec_lo, s8
	s_cbranch_execnz .LBB4_375
.LBB4_376:
	s_or_b32 exec_lo, exec_lo, s10
	v_readfirstlane_b32 s0, v31
	v_mov_b32_e32 v8, 0
	v_mov_b32_e32 v9, 0
	v_cmp_eq_u32_e64 s0, s0, v31
	s_and_saveexec_b32 s1, s0
	s_cbranch_execz .LBB4_382
; %bb.377:
	v_mov_b32_e32 v2, 0
	s_mov_b32 s8, exec_lo
	global_load_dwordx2 v[5:6], v2, s[6:7] offset:24 glc dlc
	s_waitcnt vmcnt(0)
	buffer_gl1_inv
	buffer_gl0_inv
	s_clause 0x1
	global_load_dwordx2 v[3:4], v2, s[6:7] offset:40
	global_load_dwordx2 v[7:8], v2, s[6:7]
	s_waitcnt vmcnt(1)
	v_and_b32_e32 v4, v4, v6
	v_and_b32_e32 v3, v3, v5
	v_mul_lo_u32 v4, v4, 24
	v_mul_hi_u32 v9, v3, 24
	v_mul_lo_u32 v3, v3, 24
	v_add_nc_u32_e32 v4, v9, v4
	s_waitcnt vmcnt(0)
	v_add_co_u32 v3, vcc_lo, v7, v3
	v_add_co_ci_u32_e64 v4, null, v8, v4, vcc_lo
	global_load_dwordx2 v[3:4], v[3:4], off glc dlc
	s_waitcnt vmcnt(0)
	global_atomic_cmpswap_x2 v[8:9], v2, v[3:6], s[6:7] offset:24 glc
	s_waitcnt vmcnt(0)
	buffer_gl1_inv
	buffer_gl0_inv
	v_cmpx_ne_u64_e64 v[8:9], v[5:6]
	s_cbranch_execz .LBB4_381
; %bb.378:
	s_mov_b32 s9, 0
	.p2align	6
.LBB4_379:                              ; =>This Inner Loop Header: Depth=1
	s_sleep 1
	s_clause 0x1
	global_load_dwordx2 v[3:4], v2, s[6:7] offset:40
	global_load_dwordx2 v[10:11], v2, s[6:7]
	v_mov_b32_e32 v5, v8
	v_mov_b32_e32 v6, v9
	s_waitcnt vmcnt(1)
	v_and_b32_e32 v3, v3, v5
	v_and_b32_e32 v4, v4, v6
	s_waitcnt vmcnt(0)
	v_mad_u64_u32 v[7:8], null, v3, 24, v[10:11]
	v_mov_b32_e32 v3, v8
	v_mad_u64_u32 v[3:4], null, v4, 24, v[3:4]
	v_mov_b32_e32 v8, v3
	global_load_dwordx2 v[3:4], v[7:8], off glc dlc
	s_waitcnt vmcnt(0)
	global_atomic_cmpswap_x2 v[8:9], v2, v[3:6], s[6:7] offset:24 glc
	s_waitcnt vmcnt(0)
	buffer_gl1_inv
	buffer_gl0_inv
	v_cmp_eq_u64_e32 vcc_lo, v[8:9], v[5:6]
	s_or_b32 s9, vcc_lo, s9
	s_andn2_b32 exec_lo, exec_lo, s9
	s_cbranch_execnz .LBB4_379
; %bb.380:
	s_or_b32 exec_lo, exec_lo, s9
.LBB4_381:
	s_or_b32 exec_lo, exec_lo, s8
.LBB4_382:
	s_or_b32 exec_lo, exec_lo, s1
	v_mov_b32_e32 v3, 0
	v_readfirstlane_b32 s9, v9
	v_readfirstlane_b32 s8, v8
	s_mov_b32 s1, exec_lo
	s_clause 0x1
	global_load_dwordx2 v[10:11], v3, s[6:7] offset:40
	global_load_dwordx4 v[4:7], v3, s[6:7]
	s_waitcnt vmcnt(1)
	v_readfirstlane_b32 s10, v10
	v_readfirstlane_b32 s11, v11
	s_and_b64 s[10:11], s[10:11], s[8:9]
	s_mul_i32 s12, s11, 24
	s_mul_hi_u32 s13, s10, 24
	s_mul_i32 s14, s10, 24
	s_add_i32 s13, s13, s12
	s_waitcnt vmcnt(0)
	v_add_co_u32 v8, vcc_lo, v4, s14
	v_add_co_ci_u32_e64 v9, null, s13, v5, vcc_lo
	s_and_saveexec_b32 s12, s0
	s_cbranch_execz .LBB4_384
; %bb.383:
	v_mov_b32_e32 v2, s1
	v_mov_b32_e32 v11, v3
	;; [unrolled: 1-line block ×5, first 2 shown]
	global_store_dwordx4 v[8:9], v[10:13], off offset:8
.LBB4_384:
	s_or_b32 exec_lo, exec_lo, s12
	s_lshl_b64 s[10:11], s[10:11], 12
	s_mov_b32 s12, 0
	v_add_co_u32 v6, vcc_lo, v6, s10
	v_add_co_ci_u32_e64 v7, null, s11, v7, vcc_lo
	s_mov_b32 s13, s12
	s_mov_b32 s14, s12
	;; [unrolled: 1-line block ×3, first 2 shown]
	v_and_or_b32 v0, 0xffffff1d, v0, 34
	v_mov_b32_e32 v2, 8
	v_readfirstlane_b32 s10, v6
	v_readfirstlane_b32 s11, v7
	v_mov_b32_e32 v10, s12
	v_mov_b32_e32 v11, s13
	;; [unrolled: 1-line block ×4, first 2 shown]
	global_store_dwordx4 v30, v[0:3], s[10:11]
	global_store_dwordx4 v30, v[10:13], s[10:11] offset:16
	global_store_dwordx4 v30, v[10:13], s[10:11] offset:32
	;; [unrolled: 1-line block ×3, first 2 shown]
	s_and_saveexec_b32 s1, s0
	s_cbranch_execz .LBB4_392
; %bb.385:
	v_mov_b32_e32 v6, 0
	v_mov_b32_e32 v10, s8
	;; [unrolled: 1-line block ×3, first 2 shown]
	s_clause 0x1
	global_load_dwordx2 v[12:13], v6, s[6:7] offset:32 glc dlc
	global_load_dwordx2 v[0:1], v6, s[6:7] offset:40
	s_waitcnt vmcnt(0)
	v_readfirstlane_b32 s10, v0
	v_readfirstlane_b32 s11, v1
	s_and_b64 s[10:11], s[10:11], s[8:9]
	s_mul_i32 s11, s11, 24
	s_mul_hi_u32 s12, s10, 24
	s_mul_i32 s10, s10, 24
	s_add_i32 s12, s12, s11
	v_add_co_u32 v4, vcc_lo, v4, s10
	v_add_co_ci_u32_e64 v5, null, s12, v5, vcc_lo
	s_mov_b32 s10, exec_lo
	global_store_dwordx2 v[4:5], v[12:13], off
	s_waitcnt_vscnt null, 0x0
	global_atomic_cmpswap_x2 v[2:3], v6, v[10:13], s[6:7] offset:32 glc
	s_waitcnt vmcnt(0)
	v_cmpx_ne_u64_e64 v[2:3], v[12:13]
	s_cbranch_execz .LBB4_388
; %bb.386:
	s_mov_b32 s11, 0
.LBB4_387:                              ; =>This Inner Loop Header: Depth=1
	v_mov_b32_e32 v0, s8
	v_mov_b32_e32 v1, s9
	s_sleep 1
	global_store_dwordx2 v[4:5], v[2:3], off
	s_waitcnt_vscnt null, 0x0
	global_atomic_cmpswap_x2 v[0:1], v6, v[0:3], s[6:7] offset:32 glc
	s_waitcnt vmcnt(0)
	v_cmp_eq_u64_e32 vcc_lo, v[0:1], v[2:3]
	v_mov_b32_e32 v3, v1
	v_mov_b32_e32 v2, v0
	s_or_b32 s11, vcc_lo, s11
	s_andn2_b32 exec_lo, exec_lo, s11
	s_cbranch_execnz .LBB4_387
.LBB4_388:
	s_or_b32 exec_lo, exec_lo, s10
	v_mov_b32_e32 v3, 0
	s_mov_b32 s11, exec_lo
	s_mov_b32 s10, exec_lo
	v_mbcnt_lo_u32_b32 v2, s11, 0
	global_load_dwordx2 v[0:1], v3, s[6:7] offset:16
	v_cmpx_eq_u32_e32 0, v2
	s_cbranch_execz .LBB4_390
; %bb.389:
	s_bcnt1_i32_b32 s11, s11
	v_mov_b32_e32 v2, s11
	s_waitcnt vmcnt(0)
	global_atomic_add_x2 v[0:1], v[2:3], off offset:8
.LBB4_390:
	s_or_b32 exec_lo, exec_lo, s10
	s_waitcnt vmcnt(0)
	global_load_dwordx2 v[2:3], v[0:1], off offset:16
	s_waitcnt vmcnt(0)
	v_cmp_eq_u64_e32 vcc_lo, 0, v[2:3]
	s_cbranch_vccnz .LBB4_392
; %bb.391:
	global_load_dword v0, v[0:1], off offset:24
	v_mov_b32_e32 v1, 0
	s_waitcnt vmcnt(0)
	v_readfirstlane_b32 s10, v0
	s_waitcnt_vscnt null, 0x0
	global_store_dwordx2 v[2:3], v[0:1], off
	s_and_b32 m0, s10, 0x7fffff
	s_sendmsg sendmsg(MSG_INTERRUPT)
.LBB4_392:
	s_or_b32 exec_lo, exec_lo, s1
	s_branch .LBB4_396
	.p2align	6
.LBB4_393:                              ;   in Loop: Header=BB4_396 Depth=1
	s_or_b32 exec_lo, exec_lo, s1
	v_readfirstlane_b32 s1, v0
	s_cmp_eq_u32 s1, 0
	s_cbranch_scc1 .LBB4_395
; %bb.394:                              ;   in Loop: Header=BB4_396 Depth=1
	s_sleep 1
	s_cbranch_execnz .LBB4_396
	s_branch .LBB4_398
	.p2align	6
.LBB4_395:
	s_branch .LBB4_398
.LBB4_396:                              ; =>This Inner Loop Header: Depth=1
	v_mov_b32_e32 v0, 1
	s_and_saveexec_b32 s1, s0
	s_cbranch_execz .LBB4_393
; %bb.397:                              ;   in Loop: Header=BB4_396 Depth=1
	global_load_dword v0, v[8:9], off offset:20 glc dlc
	s_waitcnt vmcnt(0)
	buffer_gl1_inv
	buffer_gl0_inv
	v_and_b32_e32 v0, 1, v0
	s_branch .LBB4_393
.LBB4_398:
	s_and_b32 exec_lo, exec_lo, s0
	s_cbranch_execz .LBB4_402
; %bb.399:
	v_mov_b32_e32 v6, 0
	s_clause 0x2
	global_load_dwordx2 v[0:1], v6, s[6:7] offset:40
	global_load_dwordx2 v[9:10], v6, s[6:7] offset:24 glc dlc
	global_load_dwordx2 v[2:3], v6, s[6:7]
	s_waitcnt vmcnt(2)
	v_readfirstlane_b32 s10, v0
	v_readfirstlane_b32 s11, v1
	s_add_u32 s12, s10, 1
	s_addc_u32 s13, s11, 0
	s_add_u32 s0, s12, s8
	s_addc_u32 s1, s13, s9
	s_cmp_eq_u64 s[0:1], 0
	s_cselect_b32 s1, s13, s1
	s_cselect_b32 s0, s12, s0
	v_mov_b32_e32 v8, s1
	s_and_b64 s[8:9], s[0:1], s[10:11]
	v_mov_b32_e32 v7, s0
	s_mul_i32 s9, s9, 24
	s_mul_hi_u32 s10, s8, 24
	s_mul_i32 s8, s8, 24
	s_add_i32 s10, s10, s9
	s_waitcnt vmcnt(0)
	v_add_co_u32 v4, vcc_lo, v2, s8
	v_add_co_ci_u32_e64 v5, null, s10, v3, vcc_lo
	global_store_dwordx2 v[4:5], v[9:10], off
	s_waitcnt_vscnt null, 0x0
	global_atomic_cmpswap_x2 v[2:3], v6, v[7:10], s[6:7] offset:24 glc
	s_waitcnt vmcnt(0)
	v_cmp_ne_u64_e32 vcc_lo, v[2:3], v[9:10]
	s_and_b32 exec_lo, exec_lo, vcc_lo
	s_cbranch_execz .LBB4_402
; %bb.400:
	s_mov_b32 s8, 0
.LBB4_401:                              ; =>This Inner Loop Header: Depth=1
	v_mov_b32_e32 v0, s0
	v_mov_b32_e32 v1, s1
	s_sleep 1
	global_store_dwordx2 v[4:5], v[2:3], off
	s_waitcnt_vscnt null, 0x0
	global_atomic_cmpswap_x2 v[0:1], v6, v[0:3], s[6:7] offset:24 glc
	s_waitcnt vmcnt(0)
	v_cmp_eq_u64_e32 vcc_lo, v[0:1], v[2:3]
	v_mov_b32_e32 v3, v1
	v_mov_b32_e32 v2, v0
	s_or_b32 s8, vcc_lo, s8
	s_andn2_b32 exec_lo, exec_lo, s8
	s_cbranch_execnz .LBB4_401
.LBB4_402:
	s_or_b32 exec_lo, exec_lo, s23
	v_and_b32_e32 v0, -8, v26
	v_and_b32_e32 v4, 7, v26
	s_mov_b32 s0, exec_lo
	s_waitcnt lgkmcnt(0)
	s_waitcnt_vscnt null, 0x0
	s_barrier
	v_ashrrev_i32_e32 v1, 31, v0
	v_lshlrev_b32_e32 v2, 2, v4
	buffer_gl0_inv
	v_lshlrev_b64 v[0:1], 2, v[0:1]
	v_add_co_u32 v0, vcc_lo, s22, v0
	v_add_co_ci_u32_e64 v1, null, s21, v1, vcc_lo
	v_add_co_u32 v2, vcc_lo, v0, v2
	v_add_co_ci_u32_e64 v3, null, 0, v1, vcc_lo
	flat_store_dword v[2:3], v26
	s_waitcnt lgkmcnt(0)
	s_waitcnt_vscnt null, 0x0
	buffer_gl1_inv
	buffer_gl0_inv
	v_cmpx_gt_u32_e32 4, v4
	s_cbranch_execz .LBB4_404
; %bb.403:
	flat_load_dword v5, v[2:3] offset:16
	s_waitcnt vmcnt(0) lgkmcnt(0)
	v_add_nc_u32_e32 v29, v5, v26
.LBB4_404:
	s_or_b32 exec_lo, exec_lo, s0
	s_mov_b32 s0, exec_lo
	buffer_gl1_inv
	buffer_gl0_inv
	flat_store_dword v[2:3], v29
	s_waitcnt lgkmcnt(0)
	s_waitcnt_vscnt null, 0x0
	buffer_gl1_inv
	buffer_gl0_inv
	v_cmpx_gt_u32_e32 2, v4
	s_cbranch_execz .LBB4_406
; %bb.405:
	flat_load_dword v5, v[2:3] offset:8
	s_waitcnt vmcnt(0) lgkmcnt(0)
	v_add_nc_u32_e32 v29, v5, v29
.LBB4_406:
	s_or_b32 exec_lo, exec_lo, s0
	v_cmp_eq_u32_e64 s0, 0, v4
	buffer_gl1_inv
	buffer_gl0_inv
	flat_store_dword v[2:3], v29
	s_waitcnt lgkmcnt(0)
	s_waitcnt_vscnt null, 0x0
	buffer_gl1_inv
	buffer_gl0_inv
	s_and_saveexec_b32 s1, s0
	s_cbranch_execnz .LBB4_409
; %bb.407:
	s_or_b32 exec_lo, exec_lo, s1
	buffer_gl1_inv
	buffer_gl0_inv
	s_and_saveexec_b32 s1, s0
	s_cbranch_execnz .LBB4_410
.LBB4_408:
	s_endpgm
.LBB4_409:
	flat_load_dword v0, v[0:1] offset:4
	s_waitcnt vmcnt(0) lgkmcnt(0)
	v_add_nc_u32_e32 v29, v0, v29
	s_or_b32 exec_lo, exec_lo, s1
	buffer_gl1_inv
	buffer_gl0_inv
	s_and_saveexec_b32 s1, s0
	s_cbranch_execz .LBB4_408
.LBB4_410:
	s_load_dwordx2 s[2:3], s[2:3], 0x50
	v_mbcnt_lo_u32_b32 v31, -1, 0
	v_mov_b32_e32 v6, 0
	v_mov_b32_e32 v7, 0
	v_readfirstlane_b32 s1, v31
	v_cmp_eq_u32_e64 s1, s1, v31
	s_and_saveexec_b32 s6, s1
	s_cbranch_execz .LBB4_416
; %bb.411:
	v_mov_b32_e32 v0, 0
	s_mov_b32 s7, exec_lo
	s_waitcnt lgkmcnt(0)
	global_load_dwordx2 v[3:4], v0, s[2:3] offset:24 glc dlc
	s_waitcnt vmcnt(0)
	buffer_gl1_inv
	buffer_gl0_inv
	s_clause 0x1
	global_load_dwordx2 v[1:2], v0, s[2:3] offset:40
	global_load_dwordx2 v[5:6], v0, s[2:3]
	s_waitcnt vmcnt(1)
	v_and_b32_e32 v2, v2, v4
	v_and_b32_e32 v1, v1, v3
	v_mul_lo_u32 v2, v2, 24
	v_mul_hi_u32 v7, v1, 24
	v_mul_lo_u32 v1, v1, 24
	v_add_nc_u32_e32 v2, v7, v2
	s_waitcnt vmcnt(0)
	v_add_co_u32 v1, vcc_lo, v5, v1
	v_add_co_ci_u32_e64 v2, null, v6, v2, vcc_lo
	global_load_dwordx2 v[1:2], v[1:2], off glc dlc
	s_waitcnt vmcnt(0)
	global_atomic_cmpswap_x2 v[6:7], v0, v[1:4], s[2:3] offset:24 glc
	s_waitcnt vmcnt(0)
	buffer_gl1_inv
	buffer_gl0_inv
	v_cmpx_ne_u64_e64 v[6:7], v[3:4]
	s_cbranch_execz .LBB4_415
; %bb.412:
	s_mov_b32 s8, 0
	.p2align	6
.LBB4_413:                              ; =>This Inner Loop Header: Depth=1
	s_sleep 1
	s_clause 0x1
	global_load_dwordx2 v[1:2], v0, s[2:3] offset:40
	global_load_dwordx2 v[8:9], v0, s[2:3]
	v_mov_b32_e32 v3, v6
	v_mov_b32_e32 v4, v7
	s_waitcnt vmcnt(1)
	v_and_b32_e32 v1, v1, v3
	v_and_b32_e32 v2, v2, v4
	s_waitcnt vmcnt(0)
	v_mad_u64_u32 v[5:6], null, v1, 24, v[8:9]
	v_mov_b32_e32 v1, v6
	v_mad_u64_u32 v[1:2], null, v2, 24, v[1:2]
	v_mov_b32_e32 v6, v1
	global_load_dwordx2 v[1:2], v[5:6], off glc dlc
	s_waitcnt vmcnt(0)
	global_atomic_cmpswap_x2 v[6:7], v0, v[1:4], s[2:3] offset:24 glc
	s_waitcnt vmcnt(0)
	buffer_gl1_inv
	buffer_gl0_inv
	v_cmp_eq_u64_e32 vcc_lo, v[6:7], v[3:4]
	s_or_b32 s8, vcc_lo, s8
	s_andn2_b32 exec_lo, exec_lo, s8
	s_cbranch_execnz .LBB4_413
; %bb.414:
	s_or_b32 exec_lo, exec_lo, s8
.LBB4_415:
	s_or_b32 exec_lo, exec_lo, s7
.LBB4_416:
	s_or_b32 exec_lo, exec_lo, s6
	v_mov_b32_e32 v5, 0
	v_readfirstlane_b32 s7, v7
	v_readfirstlane_b32 s6, v6
	s_mov_b32 s10, exec_lo
	s_waitcnt lgkmcnt(0)
	s_clause 0x1
	global_load_dwordx2 v[8:9], v5, s[2:3] offset:40
	global_load_dwordx4 v[0:3], v5, s[2:3]
	s_waitcnt vmcnt(1)
	v_readfirstlane_b32 s8, v8
	v_readfirstlane_b32 s9, v9
	s_and_b64 s[8:9], s[8:9], s[6:7]
	s_mul_i32 s11, s9, 24
	s_mul_hi_u32 s12, s8, 24
	s_mul_i32 s13, s8, 24
	s_add_i32 s12, s12, s11
	s_waitcnt vmcnt(0)
	v_add_co_u32 v8, vcc_lo, v0, s13
	v_add_co_ci_u32_e64 v9, null, s12, v1, vcc_lo
	s_and_saveexec_b32 s11, s1
	s_cbranch_execz .LBB4_418
; %bb.417:
	v_mov_b32_e32 v4, s10
	v_mov_b32_e32 v6, 2
	;; [unrolled: 1-line block ×3, first 2 shown]
	global_store_dwordx4 v[8:9], v[4:7], off offset:8
.LBB4_418:
	s_or_b32 exec_lo, exec_lo, s11
	s_lshl_b64 s[8:9], s[8:9], 12
	v_lshlrev_b32_e32 v30, 6, v31
	v_add_co_u32 v2, vcc_lo, v2, s8
	v_add_co_ci_u32_e64 v3, null, s9, v3, vcc_lo
	s_mov_b32 s8, 0
	v_add_co_u32 v10, vcc_lo, v2, v30
	s_mov_b32 s11, s8
	s_mov_b32 s9, s8
	;; [unrolled: 1-line block ×3, first 2 shown]
	v_mov_b32_e32 v4, 33
	v_mov_b32_e32 v6, v5
	;; [unrolled: 1-line block ×3, first 2 shown]
	v_readfirstlane_b32 s12, v2
	v_readfirstlane_b32 s13, v3
	v_mov_b32_e32 v15, s11
	v_add_co_ci_u32_e64 v11, null, 0, v3, vcc_lo
	v_mov_b32_e32 v14, s10
	v_mov_b32_e32 v13, s9
	;; [unrolled: 1-line block ×3, first 2 shown]
	global_store_dwordx4 v30, v[4:7], s[12:13]
	global_store_dwordx4 v30, v[12:15], s[12:13] offset:16
	global_store_dwordx4 v30, v[12:15], s[12:13] offset:32
	;; [unrolled: 1-line block ×3, first 2 shown]
	s_and_saveexec_b32 s8, s1
	s_cbranch_execz .LBB4_426
; %bb.419:
	v_mov_b32_e32 v6, 0
	v_mov_b32_e32 v12, s6
	v_mov_b32_e32 v13, s7
	s_mov_b32 s9, exec_lo
	s_clause 0x1
	global_load_dwordx2 v[14:15], v6, s[2:3] offset:32 glc dlc
	global_load_dwordx2 v[2:3], v6, s[2:3] offset:40
	s_waitcnt vmcnt(0)
	v_and_b32_e32 v3, s7, v3
	v_and_b32_e32 v2, s6, v2
	v_mul_lo_u32 v3, v3, 24
	v_mul_hi_u32 v4, v2, 24
	v_mul_lo_u32 v2, v2, 24
	v_add_nc_u32_e32 v3, v4, v3
	v_add_co_u32 v4, vcc_lo, v0, v2
	v_add_co_ci_u32_e64 v5, null, v1, v3, vcc_lo
	global_store_dwordx2 v[4:5], v[14:15], off
	s_waitcnt_vscnt null, 0x0
	global_atomic_cmpswap_x2 v[2:3], v6, v[12:15], s[2:3] offset:32 glc
	s_waitcnt vmcnt(0)
	v_cmpx_ne_u64_e64 v[2:3], v[14:15]
	s_cbranch_execz .LBB4_422
; %bb.420:
	s_mov_b32 s10, 0
.LBB4_421:                              ; =>This Inner Loop Header: Depth=1
	v_mov_b32_e32 v0, s6
	v_mov_b32_e32 v1, s7
	s_sleep 1
	global_store_dwordx2 v[4:5], v[2:3], off
	s_waitcnt_vscnt null, 0x0
	global_atomic_cmpswap_x2 v[0:1], v6, v[0:3], s[2:3] offset:32 glc
	s_waitcnt vmcnt(0)
	v_cmp_eq_u64_e32 vcc_lo, v[0:1], v[2:3]
	v_mov_b32_e32 v3, v1
	v_mov_b32_e32 v2, v0
	s_or_b32 s10, vcc_lo, s10
	s_andn2_b32 exec_lo, exec_lo, s10
	s_cbranch_execnz .LBB4_421
.LBB4_422:
	s_or_b32 exec_lo, exec_lo, s9
	v_mov_b32_e32 v3, 0
	s_mov_b32 s10, exec_lo
	s_mov_b32 s9, exec_lo
	v_mbcnt_lo_u32_b32 v2, s10, 0
	global_load_dwordx2 v[0:1], v3, s[2:3] offset:16
	v_cmpx_eq_u32_e32 0, v2
	s_cbranch_execz .LBB4_424
; %bb.423:
	s_bcnt1_i32_b32 s10, s10
	v_mov_b32_e32 v2, s10
	s_waitcnt vmcnt(0)
	global_atomic_add_x2 v[0:1], v[2:3], off offset:8
.LBB4_424:
	s_or_b32 exec_lo, exec_lo, s9
	s_waitcnt vmcnt(0)
	global_load_dwordx2 v[2:3], v[0:1], off offset:16
	s_waitcnt vmcnt(0)
	v_cmp_eq_u64_e32 vcc_lo, 0, v[2:3]
	s_cbranch_vccnz .LBB4_426
; %bb.425:
	global_load_dword v0, v[0:1], off offset:24
	v_mov_b32_e32 v1, 0
	s_waitcnt vmcnt(0)
	v_readfirstlane_b32 s9, v0
	s_waitcnt_vscnt null, 0x0
	global_store_dwordx2 v[2:3], v[0:1], off
	s_and_b32 m0, s9, 0x7fffff
	s_sendmsg sendmsg(MSG_INTERRUPT)
.LBB4_426:
	s_or_b32 exec_lo, exec_lo, s8
	s_branch .LBB4_430
	.p2align	6
.LBB4_427:                              ;   in Loop: Header=BB4_430 Depth=1
	s_or_b32 exec_lo, exec_lo, s8
	v_readfirstlane_b32 s8, v0
	s_cmp_eq_u32 s8, 0
	s_cbranch_scc1 .LBB4_429
; %bb.428:                              ;   in Loop: Header=BB4_430 Depth=1
	s_sleep 1
	s_cbranch_execnz .LBB4_430
	s_branch .LBB4_432
	.p2align	6
.LBB4_429:
	s_branch .LBB4_432
.LBB4_430:                              ; =>This Inner Loop Header: Depth=1
	v_mov_b32_e32 v0, 1
	s_and_saveexec_b32 s8, s1
	s_cbranch_execz .LBB4_427
; %bb.431:                              ;   in Loop: Header=BB4_430 Depth=1
	global_load_dword v0, v[8:9], off offset:20 glc dlc
	s_waitcnt vmcnt(0)
	buffer_gl1_inv
	buffer_gl0_inv
	v_and_b32_e32 v0, 1, v0
	s_branch .LBB4_427
.LBB4_432:
	global_load_dwordx2 v[0:1], v[10:11], off
	s_and_saveexec_b32 s8, s1
	s_cbranch_execz .LBB4_436
; %bb.433:
	v_mov_b32_e32 v8, 0
	s_clause 0x2
	global_load_dwordx2 v[2:3], v8, s[2:3] offset:40
	global_load_dwordx2 v[11:12], v8, s[2:3] offset:24 glc dlc
	global_load_dwordx2 v[4:5], v8, s[2:3]
	s_waitcnt vmcnt(2)
	v_readfirstlane_b32 s10, v2
	v_readfirstlane_b32 s11, v3
	s_add_u32 s1, s10, 1
	s_addc_u32 s9, s11, 0
	s_add_u32 s6, s1, s6
	s_addc_u32 s7, s9, s7
	s_cmp_eq_u64 s[6:7], 0
	s_cselect_b32 s7, s9, s7
	s_cselect_b32 s6, s1, s6
	v_mov_b32_e32 v10, s7
	s_and_b64 s[10:11], s[6:7], s[10:11]
	v_mov_b32_e32 v9, s6
	s_mul_i32 s1, s11, 24
	s_mul_hi_u32 s9, s10, 24
	s_mul_i32 s10, s10, 24
	s_add_i32 s9, s9, s1
	s_waitcnt vmcnt(0)
	v_add_co_u32 v6, vcc_lo, v4, s10
	v_add_co_ci_u32_e64 v7, null, s9, v5, vcc_lo
	global_store_dwordx2 v[6:7], v[11:12], off
	s_waitcnt_vscnt null, 0x0
	global_atomic_cmpswap_x2 v[4:5], v8, v[9:12], s[2:3] offset:24 glc
	s_waitcnt vmcnt(0)
	v_cmp_ne_u64_e32 vcc_lo, v[4:5], v[11:12]
	s_and_b32 exec_lo, exec_lo, vcc_lo
	s_cbranch_execz .LBB4_436
; %bb.434:
	s_mov_b32 s1, 0
.LBB4_435:                              ; =>This Inner Loop Header: Depth=1
	v_mov_b32_e32 v2, s6
	v_mov_b32_e32 v3, s7
	s_sleep 1
	global_store_dwordx2 v[6:7], v[4:5], off
	s_waitcnt_vscnt null, 0x0
	global_atomic_cmpswap_x2 v[2:3], v8, v[2:5], s[2:3] offset:24 glc
	s_waitcnt vmcnt(0)
	v_cmp_eq_u64_e32 vcc_lo, v[2:3], v[4:5]
	v_mov_b32_e32 v5, v3
	v_mov_b32_e32 v4, v2
	s_or_b32 s1, vcc_lo, s1
	s_andn2_b32 exec_lo, exec_lo, s1
	s_cbranch_execnz .LBB4_435
.LBB4_436:
	s_or_b32 exec_lo, exec_lo, s8
	s_getpc_b64 s[6:7]
	s_add_u32 s6, s6, .str.9@rel32@lo+4
	s_addc_u32 s7, s7, .str.9@rel32@hi+12
	s_cmp_lg_u64 s[6:7], 0
	s_cselect_b32 s1, -1, 0
	s_cmp_eq_u64 s[6:7], 0
	s_mov_b64 s[6:7], 0
	s_cbranch_scc1 .LBB4_440
; %bb.437:
	v_mov_b32_e32 v2, 0
	s_getpc_b64 s[6:7]
	s_add_u32 s6, s6, .str.9@rel32@lo+3
	s_addc_u32 s7, s7, .str.9@rel32@hi+11
.LBB4_438:                              ; =>This Inner Loop Header: Depth=1
	global_load_ubyte v3, v2, s[6:7] offset:1
	s_add_u32 s8, s6, 1
	s_addc_u32 s9, s7, 0
	s_mov_b64 s[6:7], s[8:9]
	s_waitcnt vmcnt(0)
	v_cmp_ne_u32_e32 vcc_lo, 0, v3
	s_cbranch_vccnz .LBB4_438
; %bb.439:
	s_getpc_b64 s[6:7]
	s_add_u32 s6, s6, .str.9@rel32@lo+4
	s_addc_u32 s7, s7, .str.9@rel32@hi+12
	s_sub_u32 s6, s8, s6
	s_subb_u32 s7, s9, s7
	s_add_u32 s6, s6, 1
	s_addc_u32 s7, s7, 0
.LBB4_440:
	s_and_b32 vcc_lo, exec_lo, s1
	s_cbranch_vccz .LBB4_519
; %bb.441:
	s_waitcnt vmcnt(0)
	v_and_b32_e32 v32, 2, v0
	v_mov_b32_e32 v7, 0
	v_and_b32_e32 v2, -3, v0
	v_mov_b32_e32 v3, v1
	v_mov_b32_e32 v8, 2
	;; [unrolled: 1-line block ×3, first 2 shown]
	s_getpc_b64 s[8:9]
	s_add_u32 s8, s8, .str.9@rel32@lo+4
	s_addc_u32 s9, s9, .str.9@rel32@hi+12
	s_branch .LBB4_443
.LBB4_442:                              ;   in Loop: Header=BB4_443 Depth=1
	s_or_b32 exec_lo, exec_lo, s14
	s_sub_u32 s6, s6, s10
	s_subb_u32 s7, s7, s11
	s_add_u32 s8, s8, s10
	s_addc_u32 s9, s9, s11
	s_cmp_lg_u64 s[6:7], 0
	s_cbranch_scc0 .LBB4_518
.LBB4_443:                              ; =>This Loop Header: Depth=1
                                        ;     Child Loop BB4_446 Depth 2
                                        ;     Child Loop BB4_453 Depth 2
	;; [unrolled: 1-line block ×11, first 2 shown]
	v_cmp_lt_u64_e64 s1, s[6:7], 56
	v_cmp_gt_u64_e64 s14, s[6:7], 7
	s_and_b32 s1, s1, exec_lo
	s_cselect_b32 s11, s7, 0
	s_cselect_b32 s10, s6, 56
	s_add_u32 s12, s8, 8
	s_addc_u32 s13, s9, 0
	s_and_b32 vcc_lo, exec_lo, s14
	s_cbranch_vccnz .LBB4_448
; %bb.444:                              ;   in Loop: Header=BB4_443 Depth=1
	v_mov_b32_e32 v4, 0
	v_mov_b32_e32 v5, 0
	s_cmp_eq_u64 s[6:7], 0
	s_cbranch_scc1 .LBB4_447
; %bb.445:                              ;   in Loop: Header=BB4_443 Depth=1
	s_lshl_b64 s[12:13], s[10:11], 3
	s_mov_b64 s[14:15], 0
	s_mov_b64 s[16:17], s[8:9]
.LBB4_446:                              ;   Parent Loop BB4_443 Depth=1
                                        ; =>  This Inner Loop Header: Depth=2
	global_load_ubyte v6, v7, s[16:17]
	s_waitcnt vmcnt(0)
	v_and_b32_e32 v6, 0xffff, v6
	v_lshlrev_b64 v[10:11], s14, v[6:7]
	s_add_u32 s14, s14, 8
	s_addc_u32 s15, s15, 0
	s_add_u32 s16, s16, 1
	s_addc_u32 s17, s17, 0
	s_cmp_lg_u32 s12, s14
	v_or_b32_e32 v4, v10, v4
	v_or_b32_e32 v5, v11, v5
	s_cbranch_scc1 .LBB4_446
.LBB4_447:                              ;   in Loop: Header=BB4_443 Depth=1
	s_mov_b64 s[12:13], s[8:9]
	s_mov_b32 s1, 0
	s_cbranch_execz .LBB4_449
	s_branch .LBB4_450
.LBB4_448:                              ;   in Loop: Header=BB4_443 Depth=1
	s_mov_b32 s1, 0
.LBB4_449:                              ;   in Loop: Header=BB4_443 Depth=1
	global_load_dwordx2 v[4:5], v7, s[8:9]
	s_add_i32 s1, s10, -8
.LBB4_450:                              ;   in Loop: Header=BB4_443 Depth=1
	s_add_u32 s14, s12, 8
	s_addc_u32 s15, s13, 0
	s_cmp_gt_u32 s1, 7
	s_cbranch_scc1 .LBB4_455
; %bb.451:                              ;   in Loop: Header=BB4_443 Depth=1
	v_mov_b32_e32 v10, 0
	v_mov_b32_e32 v11, 0
	s_cmp_eq_u32 s1, 0
	s_cbranch_scc1 .LBB4_454
; %bb.452:                              ;   in Loop: Header=BB4_443 Depth=1
	s_mov_b64 s[14:15], 0
	s_mov_b64 s[16:17], 0
.LBB4_453:                              ;   Parent Loop BB4_443 Depth=1
                                        ; =>  This Inner Loop Header: Depth=2
	s_add_u32 s18, s12, s16
	s_addc_u32 s19, s13, s17
	s_add_u32 s16, s16, 1
	global_load_ubyte v6, v7, s[18:19]
	s_addc_u32 s17, s17, 0
	s_waitcnt vmcnt(0)
	v_and_b32_e32 v6, 0xffff, v6
	v_lshlrev_b64 v[12:13], s14, v[6:7]
	s_add_u32 s14, s14, 8
	s_addc_u32 s15, s15, 0
	s_cmp_lg_u32 s1, s16
	v_or_b32_e32 v10, v12, v10
	v_or_b32_e32 v11, v13, v11
	s_cbranch_scc1 .LBB4_453
.LBB4_454:                              ;   in Loop: Header=BB4_443 Depth=1
	s_mov_b64 s[14:15], s[12:13]
	s_mov_b32 s18, 0
	s_cbranch_execz .LBB4_456
	s_branch .LBB4_457
.LBB4_455:                              ;   in Loop: Header=BB4_443 Depth=1
                                        ; implicit-def: $vgpr10_vgpr11
	s_mov_b32 s18, 0
.LBB4_456:                              ;   in Loop: Header=BB4_443 Depth=1
	global_load_dwordx2 v[10:11], v7, s[12:13]
	s_add_i32 s18, s1, -8
.LBB4_457:                              ;   in Loop: Header=BB4_443 Depth=1
	s_add_u32 s12, s14, 8
	s_addc_u32 s13, s15, 0
	s_cmp_gt_u32 s18, 7
	s_cbranch_scc1 .LBB4_462
; %bb.458:                              ;   in Loop: Header=BB4_443 Depth=1
	v_mov_b32_e32 v12, 0
	v_mov_b32_e32 v13, 0
	s_cmp_eq_u32 s18, 0
	s_cbranch_scc1 .LBB4_461
; %bb.459:                              ;   in Loop: Header=BB4_443 Depth=1
	s_mov_b64 s[12:13], 0
	s_mov_b64 s[16:17], 0
.LBB4_460:                              ;   Parent Loop BB4_443 Depth=1
                                        ; =>  This Inner Loop Header: Depth=2
	s_add_u32 s22, s14, s16
	s_addc_u32 s23, s15, s17
	s_add_u32 s16, s16, 1
	global_load_ubyte v6, v7, s[22:23]
	s_addc_u32 s17, s17, 0
	s_waitcnt vmcnt(0)
	v_and_b32_e32 v6, 0xffff, v6
	v_lshlrev_b64 v[14:15], s12, v[6:7]
	s_add_u32 s12, s12, 8
	s_addc_u32 s13, s13, 0
	s_cmp_lg_u32 s18, s16
	v_or_b32_e32 v12, v14, v12
	v_or_b32_e32 v13, v15, v13
	s_cbranch_scc1 .LBB4_460
.LBB4_461:                              ;   in Loop: Header=BB4_443 Depth=1
	s_mov_b64 s[12:13], s[14:15]
	s_mov_b32 s1, 0
	s_cbranch_execz .LBB4_463
	s_branch .LBB4_464
.LBB4_462:                              ;   in Loop: Header=BB4_443 Depth=1
	s_mov_b32 s1, 0
.LBB4_463:                              ;   in Loop: Header=BB4_443 Depth=1
	global_load_dwordx2 v[12:13], v7, s[14:15]
	s_add_i32 s1, s18, -8
.LBB4_464:                              ;   in Loop: Header=BB4_443 Depth=1
	s_add_u32 s14, s12, 8
	s_addc_u32 s15, s13, 0
	s_cmp_gt_u32 s1, 7
	s_cbranch_scc1 .LBB4_469
; %bb.465:                              ;   in Loop: Header=BB4_443 Depth=1
	v_mov_b32_e32 v14, 0
	v_mov_b32_e32 v15, 0
	s_cmp_eq_u32 s1, 0
	s_cbranch_scc1 .LBB4_468
; %bb.466:                              ;   in Loop: Header=BB4_443 Depth=1
	s_mov_b64 s[14:15], 0
	s_mov_b64 s[16:17], 0
.LBB4_467:                              ;   Parent Loop BB4_443 Depth=1
                                        ; =>  This Inner Loop Header: Depth=2
	s_add_u32 s18, s12, s16
	s_addc_u32 s19, s13, s17
	s_add_u32 s16, s16, 1
	global_load_ubyte v6, v7, s[18:19]
	s_addc_u32 s17, s17, 0
	s_waitcnt vmcnt(0)
	v_and_b32_e32 v6, 0xffff, v6
	v_lshlrev_b64 v[16:17], s14, v[6:7]
	s_add_u32 s14, s14, 8
	s_addc_u32 s15, s15, 0
	s_cmp_lg_u32 s1, s16
	v_or_b32_e32 v14, v16, v14
	v_or_b32_e32 v15, v17, v15
	s_cbranch_scc1 .LBB4_467
.LBB4_468:                              ;   in Loop: Header=BB4_443 Depth=1
	s_mov_b64 s[14:15], s[12:13]
	s_mov_b32 s18, 0
	s_cbranch_execz .LBB4_470
	s_branch .LBB4_471
.LBB4_469:                              ;   in Loop: Header=BB4_443 Depth=1
                                        ; implicit-def: $vgpr14_vgpr15
	s_mov_b32 s18, 0
.LBB4_470:                              ;   in Loop: Header=BB4_443 Depth=1
	global_load_dwordx2 v[14:15], v7, s[12:13]
	s_add_i32 s18, s1, -8
.LBB4_471:                              ;   in Loop: Header=BB4_443 Depth=1
	s_add_u32 s12, s14, 8
	s_addc_u32 s13, s15, 0
	s_cmp_gt_u32 s18, 7
	s_cbranch_scc1 .LBB4_476
; %bb.472:                              ;   in Loop: Header=BB4_443 Depth=1
	v_mov_b32_e32 v16, 0
	v_mov_b32_e32 v17, 0
	s_cmp_eq_u32 s18, 0
	s_cbranch_scc1 .LBB4_475
; %bb.473:                              ;   in Loop: Header=BB4_443 Depth=1
	s_mov_b64 s[12:13], 0
	s_mov_b64 s[16:17], 0
.LBB4_474:                              ;   Parent Loop BB4_443 Depth=1
                                        ; =>  This Inner Loop Header: Depth=2
	s_add_u32 s22, s14, s16
	s_addc_u32 s23, s15, s17
	s_add_u32 s16, s16, 1
	global_load_ubyte v6, v7, s[22:23]
	s_addc_u32 s17, s17, 0
	s_waitcnt vmcnt(0)
	v_and_b32_e32 v6, 0xffff, v6
	v_lshlrev_b64 v[18:19], s12, v[6:7]
	s_add_u32 s12, s12, 8
	s_addc_u32 s13, s13, 0
	s_cmp_lg_u32 s18, s16
	v_or_b32_e32 v16, v18, v16
	v_or_b32_e32 v17, v19, v17
	s_cbranch_scc1 .LBB4_474
.LBB4_475:                              ;   in Loop: Header=BB4_443 Depth=1
	s_mov_b64 s[12:13], s[14:15]
	s_mov_b32 s1, 0
	s_cbranch_execz .LBB4_477
	s_branch .LBB4_478
.LBB4_476:                              ;   in Loop: Header=BB4_443 Depth=1
	s_mov_b32 s1, 0
.LBB4_477:                              ;   in Loop: Header=BB4_443 Depth=1
	global_load_dwordx2 v[16:17], v7, s[14:15]
	s_add_i32 s1, s18, -8
.LBB4_478:                              ;   in Loop: Header=BB4_443 Depth=1
	s_add_u32 s14, s12, 8
	s_addc_u32 s15, s13, 0
	s_cmp_gt_u32 s1, 7
	s_cbranch_scc1 .LBB4_483
; %bb.479:                              ;   in Loop: Header=BB4_443 Depth=1
	v_mov_b32_e32 v18, 0
	v_mov_b32_e32 v19, 0
	s_cmp_eq_u32 s1, 0
	s_cbranch_scc1 .LBB4_482
; %bb.480:                              ;   in Loop: Header=BB4_443 Depth=1
	s_mov_b64 s[14:15], 0
	s_mov_b64 s[16:17], 0
.LBB4_481:                              ;   Parent Loop BB4_443 Depth=1
                                        ; =>  This Inner Loop Header: Depth=2
	s_add_u32 s18, s12, s16
	s_addc_u32 s19, s13, s17
	s_add_u32 s16, s16, 1
	global_load_ubyte v6, v7, s[18:19]
	s_addc_u32 s17, s17, 0
	s_waitcnt vmcnt(0)
	v_and_b32_e32 v6, 0xffff, v6
	v_lshlrev_b64 v[20:21], s14, v[6:7]
	s_add_u32 s14, s14, 8
	s_addc_u32 s15, s15, 0
	s_cmp_lg_u32 s1, s16
	v_or_b32_e32 v18, v20, v18
	v_or_b32_e32 v19, v21, v19
	s_cbranch_scc1 .LBB4_481
.LBB4_482:                              ;   in Loop: Header=BB4_443 Depth=1
	s_mov_b64 s[14:15], s[12:13]
	s_mov_b32 s18, 0
	s_cbranch_execz .LBB4_484
	s_branch .LBB4_485
.LBB4_483:                              ;   in Loop: Header=BB4_443 Depth=1
                                        ; implicit-def: $vgpr18_vgpr19
	s_mov_b32 s18, 0
.LBB4_484:                              ;   in Loop: Header=BB4_443 Depth=1
	global_load_dwordx2 v[18:19], v7, s[12:13]
	s_add_i32 s18, s1, -8
.LBB4_485:                              ;   in Loop: Header=BB4_443 Depth=1
	s_cmp_gt_u32 s18, 7
	s_cbranch_scc1 .LBB4_490
; %bb.486:                              ;   in Loop: Header=BB4_443 Depth=1
	v_mov_b32_e32 v20, 0
	v_mov_b32_e32 v21, 0
	s_cmp_eq_u32 s18, 0
	s_cbranch_scc1 .LBB4_489
; %bb.487:                              ;   in Loop: Header=BB4_443 Depth=1
	s_mov_b64 s[12:13], 0
	s_mov_b64 s[16:17], s[14:15]
.LBB4_488:                              ;   Parent Loop BB4_443 Depth=1
                                        ; =>  This Inner Loop Header: Depth=2
	global_load_ubyte v6, v7, s[16:17]
	s_add_i32 s18, s18, -1
	s_waitcnt vmcnt(0)
	v_and_b32_e32 v6, 0xffff, v6
	v_lshlrev_b64 v[22:23], s12, v[6:7]
	s_add_u32 s12, s12, 8
	s_addc_u32 s13, s13, 0
	s_add_u32 s16, s16, 1
	s_addc_u32 s17, s17, 0
	s_cmp_lg_u32 s18, 0
	v_or_b32_e32 v20, v22, v20
	v_or_b32_e32 v21, v23, v21
	s_cbranch_scc1 .LBB4_488
.LBB4_489:                              ;   in Loop: Header=BB4_443 Depth=1
	s_cbranch_execz .LBB4_491
	s_branch .LBB4_492
.LBB4_490:                              ;   in Loop: Header=BB4_443 Depth=1
.LBB4_491:                              ;   in Loop: Header=BB4_443 Depth=1
	global_load_dwordx2 v[20:21], v7, s[14:15]
.LBB4_492:                              ;   in Loop: Header=BB4_443 Depth=1
	v_readfirstlane_b32 s1, v31
	v_mov_b32_e32 v27, 0
	v_mov_b32_e32 v28, 0
	v_cmp_eq_u32_e64 s1, s1, v31
	s_and_saveexec_b32 s12, s1
	s_cbranch_execz .LBB4_498
; %bb.493:                              ;   in Loop: Header=BB4_443 Depth=1
	global_load_dwordx2 v[24:25], v7, s[2:3] offset:24 glc dlc
	s_waitcnt vmcnt(0)
	buffer_gl1_inv
	buffer_gl0_inv
	s_clause 0x1
	global_load_dwordx2 v[22:23], v7, s[2:3] offset:40
	global_load_dwordx2 v[27:28], v7, s[2:3]
	s_mov_b32 s13, exec_lo
	s_waitcnt vmcnt(1)
	v_and_b32_e32 v6, v23, v25
	v_and_b32_e32 v22, v22, v24
	v_mul_lo_u32 v6, v6, 24
	v_mul_hi_u32 v23, v22, 24
	v_mul_lo_u32 v22, v22, 24
	v_add_nc_u32_e32 v6, v23, v6
	s_waitcnt vmcnt(0)
	v_add_co_u32 v22, vcc_lo, v27, v22
	v_add_co_ci_u32_e64 v23, null, v28, v6, vcc_lo
	global_load_dwordx2 v[22:23], v[22:23], off glc dlc
	s_waitcnt vmcnt(0)
	global_atomic_cmpswap_x2 v[27:28], v7, v[22:25], s[2:3] offset:24 glc
	s_waitcnt vmcnt(0)
	buffer_gl1_inv
	buffer_gl0_inv
	v_cmpx_ne_u64_e64 v[27:28], v[24:25]
	s_cbranch_execz .LBB4_497
; %bb.494:                              ;   in Loop: Header=BB4_443 Depth=1
	s_mov_b32 s14, 0
	.p2align	6
.LBB4_495:                              ;   Parent Loop BB4_443 Depth=1
                                        ; =>  This Inner Loop Header: Depth=2
	s_sleep 1
	s_clause 0x1
	global_load_dwordx2 v[22:23], v7, s[2:3] offset:40
	global_load_dwordx2 v[33:34], v7, s[2:3]
	v_mov_b32_e32 v24, v27
	v_mov_b32_e32 v25, v28
	s_waitcnt vmcnt(1)
	v_and_b32_e32 v6, v22, v24
	v_and_b32_e32 v22, v23, v25
	s_waitcnt vmcnt(0)
	v_mad_u64_u32 v[27:28], null, v6, 24, v[33:34]
	v_mov_b32_e32 v6, v28
	v_mad_u64_u32 v[22:23], null, v22, 24, v[6:7]
	v_mov_b32_e32 v28, v22
	global_load_dwordx2 v[22:23], v[27:28], off glc dlc
	s_waitcnt vmcnt(0)
	global_atomic_cmpswap_x2 v[27:28], v7, v[22:25], s[2:3] offset:24 glc
	s_waitcnt vmcnt(0)
	buffer_gl1_inv
	buffer_gl0_inv
	v_cmp_eq_u64_e32 vcc_lo, v[27:28], v[24:25]
	s_or_b32 s14, vcc_lo, s14
	s_andn2_b32 exec_lo, exec_lo, s14
	s_cbranch_execnz .LBB4_495
; %bb.496:                              ;   in Loop: Header=BB4_443 Depth=1
	s_or_b32 exec_lo, exec_lo, s14
.LBB4_497:                              ;   in Loop: Header=BB4_443 Depth=1
	s_or_b32 exec_lo, exec_lo, s13
.LBB4_498:                              ;   in Loop: Header=BB4_443 Depth=1
	s_or_b32 exec_lo, exec_lo, s12
	s_clause 0x1
	global_load_dwordx2 v[33:34], v7, s[2:3] offset:40
	global_load_dwordx4 v[22:25], v7, s[2:3]
	v_readfirstlane_b32 s13, v28
	v_readfirstlane_b32 s12, v27
	s_mov_b32 s16, exec_lo
	s_waitcnt vmcnt(1)
	v_readfirstlane_b32 s14, v33
	v_readfirstlane_b32 s15, v34
	s_and_b64 s[14:15], s[14:15], s[12:13]
	s_mul_i32 s17, s15, 24
	s_mul_hi_u32 s18, s14, 24
	s_mul_i32 s19, s14, 24
	s_add_i32 s18, s18, s17
	s_waitcnt vmcnt(0)
	v_add_co_u32 v27, vcc_lo, v22, s19
	v_add_co_ci_u32_e64 v28, null, s18, v23, vcc_lo
	s_and_saveexec_b32 s17, s1
	s_cbranch_execz .LBB4_500
; %bb.499:                              ;   in Loop: Header=BB4_443 Depth=1
	v_mov_b32_e32 v6, s16
	global_store_dwordx4 v[27:28], v[6:9], off offset:8
.LBB4_500:                              ;   in Loop: Header=BB4_443 Depth=1
	s_or_b32 exec_lo, exec_lo, s17
	v_cmp_lt_u64_e64 vcc_lo, s[6:7], 57
	s_lshl_b64 s[14:15], s[14:15], 12
	v_and_b32_e32 v2, 0xffffff1f, v2
	v_cndmask_b32_e32 v6, 0, v32, vcc_lo
	v_add_co_u32 v24, vcc_lo, v24, s14
	v_add_co_ci_u32_e64 v25, null, s15, v25, vcc_lo
	v_or_b32_e32 v2, v2, v6
	s_lshl_b32 s14, s10, 2
	s_add_i32 s16, s14, 28
	v_readfirstlane_b32 s14, v24
	v_readfirstlane_b32 s15, v25
	v_and_or_b32 v2, 0x1e0, s16, v2
	global_store_dwordx4 v30, v[10:13], s[14:15] offset:16
	global_store_dwordx4 v30, v[2:5], s[14:15]
	global_store_dwordx4 v30, v[14:17], s[14:15] offset:32
	global_store_dwordx4 v30, v[18:21], s[14:15] offset:48
	s_and_saveexec_b32 s14, s1
	s_cbranch_execz .LBB4_508
; %bb.501:                              ;   in Loop: Header=BB4_443 Depth=1
	s_clause 0x1
	global_load_dwordx2 v[14:15], v7, s[2:3] offset:32 glc dlc
	global_load_dwordx2 v[2:3], v7, s[2:3] offset:40
	v_mov_b32_e32 v12, s12
	v_mov_b32_e32 v13, s13
	s_waitcnt vmcnt(0)
	v_readfirstlane_b32 s16, v2
	v_readfirstlane_b32 s17, v3
	s_and_b64 s[16:17], s[16:17], s[12:13]
	s_mul_i32 s15, s17, 24
	s_mul_hi_u32 s17, s16, 24
	s_mul_i32 s16, s16, 24
	s_add_i32 s17, s17, s15
	v_add_co_u32 v10, vcc_lo, v22, s16
	v_add_co_ci_u32_e64 v11, null, s17, v23, vcc_lo
	s_mov_b32 s15, exec_lo
	global_store_dwordx2 v[10:11], v[14:15], off
	s_waitcnt_vscnt null, 0x0
	global_atomic_cmpswap_x2 v[4:5], v7, v[12:15], s[2:3] offset:32 glc
	s_waitcnt vmcnt(0)
	v_cmpx_ne_u64_e64 v[4:5], v[14:15]
	s_cbranch_execz .LBB4_504
; %bb.502:                              ;   in Loop: Header=BB4_443 Depth=1
	s_mov_b32 s16, 0
.LBB4_503:                              ;   Parent Loop BB4_443 Depth=1
                                        ; =>  This Inner Loop Header: Depth=2
	v_mov_b32_e32 v2, s12
	v_mov_b32_e32 v3, s13
	s_sleep 1
	global_store_dwordx2 v[10:11], v[4:5], off
	s_waitcnt_vscnt null, 0x0
	global_atomic_cmpswap_x2 v[2:3], v7, v[2:5], s[2:3] offset:32 glc
	s_waitcnt vmcnt(0)
	v_cmp_eq_u64_e32 vcc_lo, v[2:3], v[4:5]
	v_mov_b32_e32 v5, v3
	v_mov_b32_e32 v4, v2
	s_or_b32 s16, vcc_lo, s16
	s_andn2_b32 exec_lo, exec_lo, s16
	s_cbranch_execnz .LBB4_503
.LBB4_504:                              ;   in Loop: Header=BB4_443 Depth=1
	s_or_b32 exec_lo, exec_lo, s15
	global_load_dwordx2 v[2:3], v7, s[2:3] offset:16
	s_mov_b32 s16, exec_lo
	s_mov_b32 s15, exec_lo
	v_mbcnt_lo_u32_b32 v4, s16, 0
	v_cmpx_eq_u32_e32 0, v4
	s_cbranch_execz .LBB4_506
; %bb.505:                              ;   in Loop: Header=BB4_443 Depth=1
	s_bcnt1_i32_b32 s16, s16
	v_mov_b32_e32 v6, s16
	s_waitcnt vmcnt(0)
	global_atomic_add_x2 v[2:3], v[6:7], off offset:8
.LBB4_506:                              ;   in Loop: Header=BB4_443 Depth=1
	s_or_b32 exec_lo, exec_lo, s15
	s_waitcnt vmcnt(0)
	global_load_dwordx2 v[4:5], v[2:3], off offset:16
	s_waitcnt vmcnt(0)
	v_cmp_eq_u64_e32 vcc_lo, 0, v[4:5]
	s_cbranch_vccnz .LBB4_508
; %bb.507:                              ;   in Loop: Header=BB4_443 Depth=1
	global_load_dword v6, v[2:3], off offset:24
	s_waitcnt vmcnt(0)
	v_readfirstlane_b32 s15, v6
	s_waitcnt_vscnt null, 0x0
	global_store_dwordx2 v[4:5], v[6:7], off
	s_and_b32 m0, s15, 0x7fffff
	s_sendmsg sendmsg(MSG_INTERRUPT)
.LBB4_508:                              ;   in Loop: Header=BB4_443 Depth=1
	s_or_b32 exec_lo, exec_lo, s14
	v_add_co_u32 v2, vcc_lo, v24, v30
	v_add_co_ci_u32_e64 v3, null, 0, v25, vcc_lo
	s_branch .LBB4_512
	.p2align	6
.LBB4_509:                              ;   in Loop: Header=BB4_512 Depth=2
	s_or_b32 exec_lo, exec_lo, s14
	v_readfirstlane_b32 s14, v4
	s_cmp_eq_u32 s14, 0
	s_cbranch_scc1 .LBB4_511
; %bb.510:                              ;   in Loop: Header=BB4_512 Depth=2
	s_sleep 1
	s_cbranch_execnz .LBB4_512
	s_branch .LBB4_514
	.p2align	6
.LBB4_511:                              ;   in Loop: Header=BB4_443 Depth=1
	s_branch .LBB4_514
.LBB4_512:                              ;   Parent Loop BB4_443 Depth=1
                                        ; =>  This Inner Loop Header: Depth=2
	v_mov_b32_e32 v4, 1
	s_and_saveexec_b32 s14, s1
	s_cbranch_execz .LBB4_509
; %bb.513:                              ;   in Loop: Header=BB4_512 Depth=2
	global_load_dword v4, v[27:28], off offset:20 glc dlc
	s_waitcnt vmcnt(0)
	buffer_gl1_inv
	buffer_gl0_inv
	v_and_b32_e32 v4, 1, v4
	s_branch .LBB4_509
.LBB4_514:                              ;   in Loop: Header=BB4_443 Depth=1
	global_load_dwordx2 v[2:3], v[2:3], off
	s_and_saveexec_b32 s14, s1
	s_cbranch_execz .LBB4_442
; %bb.515:                              ;   in Loop: Header=BB4_443 Depth=1
	s_clause 0x2
	global_load_dwordx2 v[4:5], v7, s[2:3] offset:40
	global_load_dwordx2 v[14:15], v7, s[2:3] offset:24 glc dlc
	global_load_dwordx2 v[10:11], v7, s[2:3]
	s_waitcnt vmcnt(2)
	v_readfirstlane_b32 s16, v4
	v_readfirstlane_b32 s17, v5
	s_add_u32 s1, s16, 1
	s_addc_u32 s15, s17, 0
	s_add_u32 s12, s1, s12
	s_addc_u32 s13, s15, s13
	s_cmp_eq_u64 s[12:13], 0
	s_cselect_b32 s13, s15, s13
	s_cselect_b32 s12, s1, s12
	v_mov_b32_e32 v13, s13
	s_and_b64 s[16:17], s[12:13], s[16:17]
	v_mov_b32_e32 v12, s12
	s_mul_i32 s1, s17, 24
	s_mul_hi_u32 s15, s16, 24
	s_mul_i32 s16, s16, 24
	s_add_i32 s15, s15, s1
	s_waitcnt vmcnt(0)
	v_add_co_u32 v4, vcc_lo, v10, s16
	v_add_co_ci_u32_e64 v5, null, s15, v11, vcc_lo
	global_store_dwordx2 v[4:5], v[14:15], off
	s_waitcnt_vscnt null, 0x0
	global_atomic_cmpswap_x2 v[12:13], v7, v[12:15], s[2:3] offset:24 glc
	s_waitcnt vmcnt(0)
	v_cmp_ne_u64_e32 vcc_lo, v[12:13], v[14:15]
	s_and_b32 exec_lo, exec_lo, vcc_lo
	s_cbranch_execz .LBB4_442
; %bb.516:                              ;   in Loop: Header=BB4_443 Depth=1
	s_mov_b32 s1, 0
.LBB4_517:                              ;   Parent Loop BB4_443 Depth=1
                                        ; =>  This Inner Loop Header: Depth=2
	v_mov_b32_e32 v10, s12
	v_mov_b32_e32 v11, s13
	s_sleep 1
	global_store_dwordx2 v[4:5], v[12:13], off
	s_waitcnt_vscnt null, 0x0
	global_atomic_cmpswap_x2 v[10:11], v7, v[10:13], s[2:3] offset:24 glc
	s_waitcnt vmcnt(0)
	v_cmp_eq_u64_e32 vcc_lo, v[10:11], v[12:13]
	v_mov_b32_e32 v13, v11
	v_mov_b32_e32 v12, v10
	s_or_b32 s1, vcc_lo, s1
	s_andn2_b32 exec_lo, exec_lo, s1
	s_cbranch_execnz .LBB4_517
	s_branch .LBB4_442
.LBB4_518:
	s_branch .LBB4_547
.LBB4_519:
                                        ; implicit-def: $vgpr2_vgpr3
	s_cbranch_execz .LBB4_547
; %bb.520:
	v_readfirstlane_b32 s1, v31
	v_mov_b32_e32 v8, 0
	v_mov_b32_e32 v9, 0
	v_cmp_eq_u32_e64 s1, s1, v31
	s_and_saveexec_b32 s6, s1
	s_cbranch_execz .LBB4_526
; %bb.521:
	s_waitcnt vmcnt(0)
	v_mov_b32_e32 v2, 0
	s_mov_b32 s7, exec_lo
	global_load_dwordx2 v[5:6], v2, s[2:3] offset:24 glc dlc
	s_waitcnt vmcnt(0)
	buffer_gl1_inv
	buffer_gl0_inv
	s_clause 0x1
	global_load_dwordx2 v[3:4], v2, s[2:3] offset:40
	global_load_dwordx2 v[7:8], v2, s[2:3]
	s_waitcnt vmcnt(1)
	v_and_b32_e32 v4, v4, v6
	v_and_b32_e32 v3, v3, v5
	v_mul_lo_u32 v4, v4, 24
	v_mul_hi_u32 v9, v3, 24
	v_mul_lo_u32 v3, v3, 24
	v_add_nc_u32_e32 v4, v9, v4
	s_waitcnt vmcnt(0)
	v_add_co_u32 v3, vcc_lo, v7, v3
	v_add_co_ci_u32_e64 v4, null, v8, v4, vcc_lo
	global_load_dwordx2 v[3:4], v[3:4], off glc dlc
	s_waitcnt vmcnt(0)
	global_atomic_cmpswap_x2 v[8:9], v2, v[3:6], s[2:3] offset:24 glc
	s_waitcnt vmcnt(0)
	buffer_gl1_inv
	buffer_gl0_inv
	v_cmpx_ne_u64_e64 v[8:9], v[5:6]
	s_cbranch_execz .LBB4_525
; %bb.522:
	s_mov_b32 s8, 0
	.p2align	6
.LBB4_523:                              ; =>This Inner Loop Header: Depth=1
	s_sleep 1
	s_clause 0x1
	global_load_dwordx2 v[3:4], v2, s[2:3] offset:40
	global_load_dwordx2 v[10:11], v2, s[2:3]
	v_mov_b32_e32 v5, v8
	v_mov_b32_e32 v6, v9
	s_waitcnt vmcnt(1)
	v_and_b32_e32 v3, v3, v5
	v_and_b32_e32 v4, v4, v6
	s_waitcnt vmcnt(0)
	v_mad_u64_u32 v[7:8], null, v3, 24, v[10:11]
	v_mov_b32_e32 v3, v8
	v_mad_u64_u32 v[3:4], null, v4, 24, v[3:4]
	v_mov_b32_e32 v8, v3
	global_load_dwordx2 v[3:4], v[7:8], off glc dlc
	s_waitcnt vmcnt(0)
	global_atomic_cmpswap_x2 v[8:9], v2, v[3:6], s[2:3] offset:24 glc
	s_waitcnt vmcnt(0)
	buffer_gl1_inv
	buffer_gl0_inv
	v_cmp_eq_u64_e32 vcc_lo, v[8:9], v[5:6]
	s_or_b32 s8, vcc_lo, s8
	s_andn2_b32 exec_lo, exec_lo, s8
	s_cbranch_execnz .LBB4_523
; %bb.524:
	s_or_b32 exec_lo, exec_lo, s8
.LBB4_525:
	s_or_b32 exec_lo, exec_lo, s7
.LBB4_526:
	s_or_b32 exec_lo, exec_lo, s6
	s_waitcnt vmcnt(0)
	v_mov_b32_e32 v2, 0
	v_readfirstlane_b32 s7, v9
	v_readfirstlane_b32 s6, v8
	s_mov_b32 s10, exec_lo
	s_clause 0x1
	global_load_dwordx2 v[10:11], v2, s[2:3] offset:40
	global_load_dwordx4 v[4:7], v2, s[2:3]
	s_waitcnt vmcnt(1)
	v_readfirstlane_b32 s8, v10
	v_readfirstlane_b32 s9, v11
	s_and_b64 s[8:9], s[8:9], s[6:7]
	s_mul_i32 s11, s9, 24
	s_mul_hi_u32 s12, s8, 24
	s_mul_i32 s13, s8, 24
	s_add_i32 s12, s12, s11
	s_waitcnt vmcnt(0)
	v_add_co_u32 v8, vcc_lo, v4, s13
	v_add_co_ci_u32_e64 v9, null, s12, v5, vcc_lo
	s_and_saveexec_b32 s11, s1
	s_cbranch_execz .LBB4_528
; %bb.527:
	v_mov_b32_e32 v10, s10
	v_mov_b32_e32 v11, v2
	;; [unrolled: 1-line block ×4, first 2 shown]
	global_store_dwordx4 v[8:9], v[10:13], off offset:8
.LBB4_528:
	s_or_b32 exec_lo, exec_lo, s11
	s_lshl_b64 s[8:9], s[8:9], 12
	v_and_or_b32 v0, 0xffffff1f, v0, 32
	v_add_co_u32 v6, vcc_lo, v6, s8
	v_add_co_ci_u32_e64 v7, null, s9, v7, vcc_lo
	s_mov_b32 s8, 0
	v_readfirstlane_b32 s12, v6
	s_mov_b32 s11, s8
	v_add_co_u32 v6, vcc_lo, v6, v30
	s_mov_b32 s9, s8
	s_mov_b32 s10, s8
	v_mov_b32_e32 v3, v2
	v_readfirstlane_b32 s13, v7
	v_mov_b32_e32 v13, s11
	v_add_co_ci_u32_e64 v7, null, 0, v7, vcc_lo
	v_mov_b32_e32 v12, s10
	v_mov_b32_e32 v11, s9
	;; [unrolled: 1-line block ×3, first 2 shown]
	global_store_dwordx4 v30, v[0:3], s[12:13]
	global_store_dwordx4 v30, v[10:13], s[12:13] offset:16
	global_store_dwordx4 v30, v[10:13], s[12:13] offset:32
	;; [unrolled: 1-line block ×3, first 2 shown]
	s_and_saveexec_b32 s8, s1
	s_cbranch_execz .LBB4_536
; %bb.529:
	v_mov_b32_e32 v10, 0
	v_mov_b32_e32 v11, s6
	v_mov_b32_e32 v12, s7
	s_clause 0x1
	global_load_dwordx2 v[13:14], v10, s[2:3] offset:32 glc dlc
	global_load_dwordx2 v[0:1], v10, s[2:3] offset:40
	s_waitcnt vmcnt(0)
	v_readfirstlane_b32 s10, v0
	v_readfirstlane_b32 s11, v1
	s_and_b64 s[10:11], s[10:11], s[6:7]
	s_mul_i32 s9, s11, 24
	s_mul_hi_u32 s11, s10, 24
	s_mul_i32 s10, s10, 24
	s_add_i32 s11, s11, s9
	v_add_co_u32 v4, vcc_lo, v4, s10
	v_add_co_ci_u32_e64 v5, null, s11, v5, vcc_lo
	s_mov_b32 s9, exec_lo
	global_store_dwordx2 v[4:5], v[13:14], off
	s_waitcnt_vscnt null, 0x0
	global_atomic_cmpswap_x2 v[2:3], v10, v[11:14], s[2:3] offset:32 glc
	s_waitcnt vmcnt(0)
	v_cmpx_ne_u64_e64 v[2:3], v[13:14]
	s_cbranch_execz .LBB4_532
; %bb.530:
	s_mov_b32 s10, 0
.LBB4_531:                              ; =>This Inner Loop Header: Depth=1
	v_mov_b32_e32 v0, s6
	v_mov_b32_e32 v1, s7
	s_sleep 1
	global_store_dwordx2 v[4:5], v[2:3], off
	s_waitcnt_vscnt null, 0x0
	global_atomic_cmpswap_x2 v[0:1], v10, v[0:3], s[2:3] offset:32 glc
	s_waitcnt vmcnt(0)
	v_cmp_eq_u64_e32 vcc_lo, v[0:1], v[2:3]
	v_mov_b32_e32 v3, v1
	v_mov_b32_e32 v2, v0
	s_or_b32 s10, vcc_lo, s10
	s_andn2_b32 exec_lo, exec_lo, s10
	s_cbranch_execnz .LBB4_531
.LBB4_532:
	s_or_b32 exec_lo, exec_lo, s9
	v_mov_b32_e32 v3, 0
	s_mov_b32 s10, exec_lo
	s_mov_b32 s9, exec_lo
	v_mbcnt_lo_u32_b32 v2, s10, 0
	global_load_dwordx2 v[0:1], v3, s[2:3] offset:16
	v_cmpx_eq_u32_e32 0, v2
	s_cbranch_execz .LBB4_534
; %bb.533:
	s_bcnt1_i32_b32 s10, s10
	v_mov_b32_e32 v2, s10
	s_waitcnt vmcnt(0)
	global_atomic_add_x2 v[0:1], v[2:3], off offset:8
.LBB4_534:
	s_or_b32 exec_lo, exec_lo, s9
	s_waitcnt vmcnt(0)
	global_load_dwordx2 v[2:3], v[0:1], off offset:16
	s_waitcnt vmcnt(0)
	v_cmp_eq_u64_e32 vcc_lo, 0, v[2:3]
	s_cbranch_vccnz .LBB4_536
; %bb.535:
	global_load_dword v0, v[0:1], off offset:24
	v_mov_b32_e32 v1, 0
	s_waitcnt vmcnt(0)
	v_readfirstlane_b32 s9, v0
	s_waitcnt_vscnt null, 0x0
	global_store_dwordx2 v[2:3], v[0:1], off
	s_and_b32 m0, s9, 0x7fffff
	s_sendmsg sendmsg(MSG_INTERRUPT)
.LBB4_536:
	s_or_b32 exec_lo, exec_lo, s8
	s_branch .LBB4_540
	.p2align	6
.LBB4_537:                              ;   in Loop: Header=BB4_540 Depth=1
	s_or_b32 exec_lo, exec_lo, s8
	v_readfirstlane_b32 s8, v0
	s_cmp_eq_u32 s8, 0
	s_cbranch_scc1 .LBB4_539
; %bb.538:                              ;   in Loop: Header=BB4_540 Depth=1
	s_sleep 1
	s_cbranch_execnz .LBB4_540
	s_branch .LBB4_542
	.p2align	6
.LBB4_539:
	s_branch .LBB4_542
.LBB4_540:                              ; =>This Inner Loop Header: Depth=1
	v_mov_b32_e32 v0, 1
	s_and_saveexec_b32 s8, s1
	s_cbranch_execz .LBB4_537
; %bb.541:                              ;   in Loop: Header=BB4_540 Depth=1
	global_load_dword v0, v[8:9], off offset:20 glc dlc
	s_waitcnt vmcnt(0)
	buffer_gl1_inv
	buffer_gl0_inv
	v_and_b32_e32 v0, 1, v0
	s_branch .LBB4_537
.LBB4_542:
	global_load_dwordx2 v[2:3], v[6:7], off
	s_and_saveexec_b32 s8, s1
	s_cbranch_execz .LBB4_546
; %bb.543:
	v_mov_b32_e32 v8, 0
	s_clause 0x2
	global_load_dwordx2 v[0:1], v8, s[2:3] offset:40
	global_load_dwordx2 v[11:12], v8, s[2:3] offset:24 glc dlc
	global_load_dwordx2 v[4:5], v8, s[2:3]
	s_waitcnt vmcnt(2)
	v_readfirstlane_b32 s10, v0
	v_readfirstlane_b32 s11, v1
	s_add_u32 s1, s10, 1
	s_addc_u32 s9, s11, 0
	s_add_u32 s6, s1, s6
	s_addc_u32 s7, s9, s7
	s_cmp_eq_u64 s[6:7], 0
	s_cselect_b32 s7, s9, s7
	s_cselect_b32 s6, s1, s6
	v_mov_b32_e32 v10, s7
	s_and_b64 s[10:11], s[6:7], s[10:11]
	v_mov_b32_e32 v9, s6
	s_mul_i32 s1, s11, 24
	s_mul_hi_u32 s9, s10, 24
	s_mul_i32 s10, s10, 24
	s_add_i32 s9, s9, s1
	s_waitcnt vmcnt(0)
	v_add_co_u32 v0, vcc_lo, v4, s10
	v_add_co_ci_u32_e64 v1, null, s9, v5, vcc_lo
	global_store_dwordx2 v[0:1], v[11:12], off
	s_waitcnt_vscnt null, 0x0
	global_atomic_cmpswap_x2 v[6:7], v8, v[9:12], s[2:3] offset:24 glc
	s_waitcnt vmcnt(0)
	v_cmp_ne_u64_e32 vcc_lo, v[6:7], v[11:12]
	s_and_b32 exec_lo, exec_lo, vcc_lo
	s_cbranch_execz .LBB4_546
; %bb.544:
	s_mov_b32 s1, 0
.LBB4_545:                              ; =>This Inner Loop Header: Depth=1
	v_mov_b32_e32 v4, s6
	v_mov_b32_e32 v5, s7
	s_sleep 1
	global_store_dwordx2 v[0:1], v[6:7], off
	s_waitcnt_vscnt null, 0x0
	global_atomic_cmpswap_x2 v[4:5], v8, v[4:7], s[2:3] offset:24 glc
	s_waitcnt vmcnt(0)
	v_cmp_eq_u64_e32 vcc_lo, v[4:5], v[6:7]
	v_mov_b32_e32 v7, v5
	v_mov_b32_e32 v6, v4
	s_or_b32 s1, vcc_lo, s1
	s_andn2_b32 exec_lo, exec_lo, s1
	s_cbranch_execnz .LBB4_545
.LBB4_546:
	s_or_b32 exec_lo, exec_lo, s8
.LBB4_547:
	v_readfirstlane_b32 s1, v31
	s_waitcnt vmcnt(0)
	v_mov_b32_e32 v0, 0
	v_mov_b32_e32 v1, 0
	v_cmp_eq_u32_e64 s1, s1, v31
	s_and_saveexec_b32 s6, s1
	s_cbranch_execz .LBB4_553
; %bb.548:
	v_mov_b32_e32 v4, 0
	s_mov_b32 s7, exec_lo
	global_load_dwordx2 v[7:8], v4, s[2:3] offset:24 glc dlc
	s_waitcnt vmcnt(0)
	buffer_gl1_inv
	buffer_gl0_inv
	s_clause 0x1
	global_load_dwordx2 v[0:1], v4, s[2:3] offset:40
	global_load_dwordx2 v[5:6], v4, s[2:3]
	s_waitcnt vmcnt(1)
	v_and_b32_e32 v1, v1, v8
	v_and_b32_e32 v0, v0, v7
	v_mul_lo_u32 v1, v1, 24
	v_mul_hi_u32 v9, v0, 24
	v_mul_lo_u32 v0, v0, 24
	v_add_nc_u32_e32 v1, v9, v1
	s_waitcnt vmcnt(0)
	v_add_co_u32 v0, vcc_lo, v5, v0
	v_add_co_ci_u32_e64 v1, null, v6, v1, vcc_lo
	global_load_dwordx2 v[5:6], v[0:1], off glc dlc
	s_waitcnt vmcnt(0)
	global_atomic_cmpswap_x2 v[0:1], v4, v[5:8], s[2:3] offset:24 glc
	s_waitcnt vmcnt(0)
	buffer_gl1_inv
	buffer_gl0_inv
	v_cmpx_ne_u64_e64 v[0:1], v[7:8]
	s_cbranch_execz .LBB4_552
; %bb.549:
	s_mov_b32 s8, 0
	.p2align	6
.LBB4_550:                              ; =>This Inner Loop Header: Depth=1
	s_sleep 1
	s_clause 0x1
	global_load_dwordx2 v[5:6], v4, s[2:3] offset:40
	global_load_dwordx2 v[9:10], v4, s[2:3]
	v_mov_b32_e32 v8, v1
	v_mov_b32_e32 v7, v0
	s_waitcnt vmcnt(1)
	v_and_b32_e32 v0, v5, v7
	v_and_b32_e32 v5, v6, v8
	s_waitcnt vmcnt(0)
	v_mad_u64_u32 v[0:1], null, v0, 24, v[9:10]
	v_mad_u64_u32 v[5:6], null, v5, 24, v[1:2]
	v_mov_b32_e32 v1, v5
	global_load_dwordx2 v[5:6], v[0:1], off glc dlc
	s_waitcnt vmcnt(0)
	global_atomic_cmpswap_x2 v[0:1], v4, v[5:8], s[2:3] offset:24 glc
	s_waitcnt vmcnt(0)
	buffer_gl1_inv
	buffer_gl0_inv
	v_cmp_eq_u64_e32 vcc_lo, v[0:1], v[7:8]
	s_or_b32 s8, vcc_lo, s8
	s_andn2_b32 exec_lo, exec_lo, s8
	s_cbranch_execnz .LBB4_550
; %bb.551:
	s_or_b32 exec_lo, exec_lo, s8
.LBB4_552:
	s_or_b32 exec_lo, exec_lo, s7
.LBB4_553:
	s_or_b32 exec_lo, exec_lo, s6
	v_mov_b32_e32 v5, 0
	v_readfirstlane_b32 s7, v1
	v_readfirstlane_b32 s6, v0
	s_mov_b32 s10, exec_lo
	s_clause 0x1
	global_load_dwordx2 v[10:11], v5, s[2:3] offset:40
	global_load_dwordx4 v[6:9], v5, s[2:3]
	s_waitcnt vmcnt(1)
	v_readfirstlane_b32 s8, v10
	v_readfirstlane_b32 s9, v11
	s_and_b64 s[8:9], s[8:9], s[6:7]
	s_mul_i32 s11, s9, 24
	s_mul_hi_u32 s12, s8, 24
	s_mul_i32 s13, s8, 24
	s_add_i32 s12, s12, s11
	s_waitcnt vmcnt(0)
	v_add_co_u32 v10, vcc_lo, v6, s13
	v_add_co_ci_u32_e64 v11, null, s12, v7, vcc_lo
	s_and_saveexec_b32 s11, s1
	s_cbranch_execz .LBB4_555
; %bb.554:
	v_mov_b32_e32 v4, s10
	v_mov_b32_e32 v13, v5
	;; [unrolled: 1-line block ×5, first 2 shown]
	global_store_dwordx4 v[10:11], v[12:15], off offset:8
.LBB4_555:
	s_or_b32 exec_lo, exec_lo, s11
	s_lshl_b64 s[8:9], s[8:9], 12
	v_and_or_b32 v2, 0xffffff1f, v2, 32
	v_add_co_u32 v0, vcc_lo, v8, s8
	v_add_co_ci_u32_e64 v1, null, s9, v9, vcc_lo
	s_mov_b32 s8, 0
	v_add_co_u32 v8, vcc_lo, v0, v30
	s_mov_b32 s11, s8
	s_mov_b32 s9, s8
	s_mov_b32 s10, s8
	v_mov_b32_e32 v4, 7
	v_readfirstlane_b32 s12, v0
	v_readfirstlane_b32 s13, v1
	v_mov_b32_e32 v15, s11
	v_add_co_ci_u32_e64 v9, null, 0, v1, vcc_lo
	v_mov_b32_e32 v14, s10
	v_mov_b32_e32 v13, s9
	;; [unrolled: 1-line block ×3, first 2 shown]
	global_store_dwordx4 v30, v[2:5], s[12:13]
	global_store_dwordx4 v30, v[12:15], s[12:13] offset:16
	global_store_dwordx4 v30, v[12:15], s[12:13] offset:32
	;; [unrolled: 1-line block ×3, first 2 shown]
	s_and_saveexec_b32 s8, s1
	s_cbranch_execz .LBB4_563
; %bb.556:
	v_mov_b32_e32 v12, 0
	v_mov_b32_e32 v13, s6
	v_mov_b32_e32 v14, s7
	s_clause 0x1
	global_load_dwordx2 v[15:16], v12, s[2:3] offset:32 glc dlc
	global_load_dwordx2 v[0:1], v12, s[2:3] offset:40
	s_waitcnt vmcnt(0)
	v_readfirstlane_b32 s10, v0
	v_readfirstlane_b32 s11, v1
	s_and_b64 s[10:11], s[10:11], s[6:7]
	s_mul_i32 s9, s11, 24
	s_mul_hi_u32 s11, s10, 24
	s_mul_i32 s10, s10, 24
	s_add_i32 s11, s11, s9
	v_add_co_u32 v4, vcc_lo, v6, s10
	v_add_co_ci_u32_e64 v5, null, s11, v7, vcc_lo
	s_mov_b32 s9, exec_lo
	global_store_dwordx2 v[4:5], v[15:16], off
	s_waitcnt_vscnt null, 0x0
	global_atomic_cmpswap_x2 v[2:3], v12, v[13:16], s[2:3] offset:32 glc
	s_waitcnt vmcnt(0)
	v_cmpx_ne_u64_e64 v[2:3], v[15:16]
	s_cbranch_execz .LBB4_559
; %bb.557:
	s_mov_b32 s10, 0
.LBB4_558:                              ; =>This Inner Loop Header: Depth=1
	v_mov_b32_e32 v0, s6
	v_mov_b32_e32 v1, s7
	s_sleep 1
	global_store_dwordx2 v[4:5], v[2:3], off
	s_waitcnt_vscnt null, 0x0
	global_atomic_cmpswap_x2 v[0:1], v12, v[0:3], s[2:3] offset:32 glc
	s_waitcnt vmcnt(0)
	v_cmp_eq_u64_e32 vcc_lo, v[0:1], v[2:3]
	v_mov_b32_e32 v3, v1
	v_mov_b32_e32 v2, v0
	s_or_b32 s10, vcc_lo, s10
	s_andn2_b32 exec_lo, exec_lo, s10
	s_cbranch_execnz .LBB4_558
.LBB4_559:
	s_or_b32 exec_lo, exec_lo, s9
	v_mov_b32_e32 v3, 0
	s_mov_b32 s10, exec_lo
	s_mov_b32 s9, exec_lo
	v_mbcnt_lo_u32_b32 v2, s10, 0
	global_load_dwordx2 v[0:1], v3, s[2:3] offset:16
	v_cmpx_eq_u32_e32 0, v2
	s_cbranch_execz .LBB4_561
; %bb.560:
	s_bcnt1_i32_b32 s10, s10
	v_mov_b32_e32 v2, s10
	s_waitcnt vmcnt(0)
	global_atomic_add_x2 v[0:1], v[2:3], off offset:8
.LBB4_561:
	s_or_b32 exec_lo, exec_lo, s9
	s_waitcnt vmcnt(0)
	global_load_dwordx2 v[2:3], v[0:1], off offset:16
	s_waitcnt vmcnt(0)
	v_cmp_eq_u64_e32 vcc_lo, 0, v[2:3]
	s_cbranch_vccnz .LBB4_563
; %bb.562:
	global_load_dword v0, v[0:1], off offset:24
	v_mov_b32_e32 v1, 0
	s_waitcnt vmcnt(0)
	v_readfirstlane_b32 s9, v0
	s_waitcnt_vscnt null, 0x0
	global_store_dwordx2 v[2:3], v[0:1], off
	s_and_b32 m0, s9, 0x7fffff
	s_sendmsg sendmsg(MSG_INTERRUPT)
.LBB4_563:
	s_or_b32 exec_lo, exec_lo, s8
	s_branch .LBB4_567
	.p2align	6
.LBB4_564:                              ;   in Loop: Header=BB4_567 Depth=1
	s_or_b32 exec_lo, exec_lo, s8
	v_readfirstlane_b32 s8, v0
	s_cmp_eq_u32 s8, 0
	s_cbranch_scc1 .LBB4_566
; %bb.565:                              ;   in Loop: Header=BB4_567 Depth=1
	s_sleep 1
	s_cbranch_execnz .LBB4_567
	s_branch .LBB4_569
	.p2align	6
.LBB4_566:
	s_branch .LBB4_569
.LBB4_567:                              ; =>This Inner Loop Header: Depth=1
	v_mov_b32_e32 v0, 1
	s_and_saveexec_b32 s8, s1
	s_cbranch_execz .LBB4_564
; %bb.568:                              ;   in Loop: Header=BB4_567 Depth=1
	global_load_dword v0, v[10:11], off offset:20 glc dlc
	s_waitcnt vmcnt(0)
	buffer_gl1_inv
	buffer_gl0_inv
	v_and_b32_e32 v0, 1, v0
	s_branch .LBB4_564
.LBB4_569:
	global_load_dwordx2 v[0:1], v[8:9], off
	s_and_saveexec_b32 s8, s1
	s_cbranch_execz .LBB4_573
; %bb.570:
	v_mov_b32_e32 v8, 0
	s_clause 0x2
	global_load_dwordx2 v[2:3], v8, s[2:3] offset:40
	global_load_dwordx2 v[11:12], v8, s[2:3] offset:24 glc dlc
	global_load_dwordx2 v[4:5], v8, s[2:3]
	s_waitcnt vmcnt(2)
	v_readfirstlane_b32 s10, v2
	v_readfirstlane_b32 s11, v3
	s_add_u32 s1, s10, 1
	s_addc_u32 s9, s11, 0
	s_add_u32 s6, s1, s6
	s_addc_u32 s7, s9, s7
	s_cmp_eq_u64 s[6:7], 0
	s_cselect_b32 s7, s9, s7
	s_cselect_b32 s6, s1, s6
	v_mov_b32_e32 v10, s7
	s_and_b64 s[10:11], s[6:7], s[10:11]
	v_mov_b32_e32 v9, s6
	s_mul_i32 s1, s11, 24
	s_mul_hi_u32 s9, s10, 24
	s_mul_i32 s10, s10, 24
	s_add_i32 s9, s9, s1
	s_waitcnt vmcnt(0)
	v_add_co_u32 v6, vcc_lo, v4, s10
	v_add_co_ci_u32_e64 v7, null, s9, v5, vcc_lo
	global_store_dwordx2 v[6:7], v[11:12], off
	s_waitcnt_vscnt null, 0x0
	global_atomic_cmpswap_x2 v[4:5], v8, v[9:12], s[2:3] offset:24 glc
	s_waitcnt vmcnt(0)
	v_cmp_ne_u64_e32 vcc_lo, v[4:5], v[11:12]
	s_and_b32 exec_lo, exec_lo, vcc_lo
	s_cbranch_execz .LBB4_573
; %bb.571:
	s_mov_b32 s1, 0
.LBB4_572:                              ; =>This Inner Loop Header: Depth=1
	v_mov_b32_e32 v2, s6
	v_mov_b32_e32 v3, s7
	s_sleep 1
	global_store_dwordx2 v[6:7], v[4:5], off
	s_waitcnt_vscnt null, 0x0
	global_atomic_cmpswap_x2 v[2:3], v8, v[2:5], s[2:3] offset:24 glc
	s_waitcnt vmcnt(0)
	v_cmp_eq_u64_e32 vcc_lo, v[2:3], v[4:5]
	v_mov_b32_e32 v5, v3
	v_mov_b32_e32 v4, v2
	s_or_b32 s1, vcc_lo, s1
	s_andn2_b32 exec_lo, exec_lo, s1
	s_cbranch_execnz .LBB4_572
.LBB4_573:
	s_or_b32 exec_lo, exec_lo, s8
	v_readfirstlane_b32 s1, v31
	v_mov_b32_e32 v8, 0
	v_mov_b32_e32 v9, 0
	v_cmp_eq_u32_e64 s1, s1, v31
	s_and_saveexec_b32 s6, s1
	s_cbranch_execz .LBB4_579
; %bb.574:
	v_mov_b32_e32 v2, 0
	s_mov_b32 s7, exec_lo
	global_load_dwordx2 v[5:6], v2, s[2:3] offset:24 glc dlc
	s_waitcnt vmcnt(0)
	buffer_gl1_inv
	buffer_gl0_inv
	s_clause 0x1
	global_load_dwordx2 v[3:4], v2, s[2:3] offset:40
	global_load_dwordx2 v[7:8], v2, s[2:3]
	s_waitcnt vmcnt(1)
	v_and_b32_e32 v4, v4, v6
	v_and_b32_e32 v3, v3, v5
	v_mul_lo_u32 v4, v4, 24
	v_mul_hi_u32 v9, v3, 24
	v_mul_lo_u32 v3, v3, 24
	v_add_nc_u32_e32 v4, v9, v4
	s_waitcnt vmcnt(0)
	v_add_co_u32 v3, vcc_lo, v7, v3
	v_add_co_ci_u32_e64 v4, null, v8, v4, vcc_lo
	global_load_dwordx2 v[3:4], v[3:4], off glc dlc
	s_waitcnt vmcnt(0)
	global_atomic_cmpswap_x2 v[8:9], v2, v[3:6], s[2:3] offset:24 glc
	s_waitcnt vmcnt(0)
	buffer_gl1_inv
	buffer_gl0_inv
	v_cmpx_ne_u64_e64 v[8:9], v[5:6]
	s_cbranch_execz .LBB4_578
; %bb.575:
	s_mov_b32 s8, 0
	.p2align	6
.LBB4_576:                              ; =>This Inner Loop Header: Depth=1
	s_sleep 1
	s_clause 0x1
	global_load_dwordx2 v[3:4], v2, s[2:3] offset:40
	global_load_dwordx2 v[10:11], v2, s[2:3]
	v_mov_b32_e32 v5, v8
	v_mov_b32_e32 v6, v9
	s_waitcnt vmcnt(1)
	v_and_b32_e32 v3, v3, v5
	v_and_b32_e32 v4, v4, v6
	s_waitcnt vmcnt(0)
	v_mad_u64_u32 v[7:8], null, v3, 24, v[10:11]
	v_mov_b32_e32 v3, v8
	v_mad_u64_u32 v[3:4], null, v4, 24, v[3:4]
	v_mov_b32_e32 v8, v3
	global_load_dwordx2 v[3:4], v[7:8], off glc dlc
	s_waitcnt vmcnt(0)
	global_atomic_cmpswap_x2 v[8:9], v2, v[3:6], s[2:3] offset:24 glc
	s_waitcnt vmcnt(0)
	buffer_gl1_inv
	buffer_gl0_inv
	v_cmp_eq_u64_e32 vcc_lo, v[8:9], v[5:6]
	s_or_b32 s8, vcc_lo, s8
	s_andn2_b32 exec_lo, exec_lo, s8
	s_cbranch_execnz .LBB4_576
; %bb.577:
	s_or_b32 exec_lo, exec_lo, s8
.LBB4_578:
	s_or_b32 exec_lo, exec_lo, s7
.LBB4_579:
	s_or_b32 exec_lo, exec_lo, s6
	v_mov_b32_e32 v3, 0
	v_readfirstlane_b32 s7, v9
	v_readfirstlane_b32 s6, v8
	s_mov_b32 s10, exec_lo
	s_clause 0x1
	global_load_dwordx2 v[10:11], v3, s[2:3] offset:40
	global_load_dwordx4 v[4:7], v3, s[2:3]
	s_waitcnt vmcnt(1)
	v_readfirstlane_b32 s8, v10
	v_readfirstlane_b32 s9, v11
	s_and_b64 s[8:9], s[8:9], s[6:7]
	s_mul_i32 s11, s9, 24
	s_mul_hi_u32 s12, s8, 24
	s_mul_i32 s13, s8, 24
	s_add_i32 s12, s12, s11
	s_waitcnt vmcnt(0)
	v_add_co_u32 v8, vcc_lo, v4, s13
	v_add_co_ci_u32_e64 v9, null, s12, v5, vcc_lo
	s_and_saveexec_b32 s11, s1
	s_cbranch_execz .LBB4_581
; %bb.580:
	v_mov_b32_e32 v2, s10
	v_mov_b32_e32 v11, v3
	;; [unrolled: 1-line block ×5, first 2 shown]
	global_store_dwordx4 v[8:9], v[10:13], off offset:8
.LBB4_581:
	s_or_b32 exec_lo, exec_lo, s11
	s_lshl_b64 s[8:9], s[8:9], 12
	v_cndmask_b32_e64 v2, -1, v29, s0
	v_add_co_u32 v6, vcc_lo, v6, s8
	v_add_co_ci_u32_e64 v7, null, s9, v7, vcc_lo
	s_mov_b32 s8, 0
	v_add_co_u32 v10, vcc_lo, v6, v30
	s_mov_b32 s11, s8
	s_mov_b32 s9, s8
	;; [unrolled: 1-line block ×3, first 2 shown]
	v_and_or_b32 v0, 0xffffff1f, v0, 32
	v_readfirstlane_b32 s12, v6
	v_readfirstlane_b32 s13, v7
	v_mov_b32_e32 v15, s11
	v_add_co_ci_u32_e64 v11, null, 0, v7, vcc_lo
	v_mov_b32_e32 v14, s10
	v_mov_b32_e32 v13, s9
	;; [unrolled: 1-line block ×3, first 2 shown]
	global_store_dwordx4 v30, v[0:3], s[12:13]
	global_store_dwordx4 v30, v[12:15], s[12:13] offset:16
	global_store_dwordx4 v30, v[12:15], s[12:13] offset:32
	;; [unrolled: 1-line block ×3, first 2 shown]
	s_and_saveexec_b32 s0, s1
	s_cbranch_execz .LBB4_589
; %bb.582:
	v_mov_b32_e32 v7, 0
	v_mov_b32_e32 v12, s6
	;; [unrolled: 1-line block ×3, first 2 shown]
	s_clause 0x1
	global_load_dwordx2 v[14:15], v7, s[2:3] offset:32 glc dlc
	global_load_dwordx2 v[0:1], v7, s[2:3] offset:40
	s_waitcnt vmcnt(0)
	v_readfirstlane_b32 s8, v0
	v_readfirstlane_b32 s9, v1
	s_and_b64 s[8:9], s[8:9], s[6:7]
	s_mul_i32 s9, s9, 24
	s_mul_hi_u32 s10, s8, 24
	s_mul_i32 s8, s8, 24
	s_add_i32 s10, s10, s9
	v_add_co_u32 v0, vcc_lo, v4, s8
	v_add_co_ci_u32_e64 v1, null, s10, v5, vcc_lo
	s_mov_b32 s8, exec_lo
	global_store_dwordx2 v[0:1], v[14:15], off
	s_waitcnt_vscnt null, 0x0
	global_atomic_cmpswap_x2 v[5:6], v7, v[12:15], s[2:3] offset:32 glc
	s_waitcnt vmcnt(0)
	v_cmpx_ne_u64_e64 v[5:6], v[14:15]
	s_cbranch_execz .LBB4_585
; %bb.583:
	s_mov_b32 s9, 0
.LBB4_584:                              ; =>This Inner Loop Header: Depth=1
	v_mov_b32_e32 v3, s6
	v_mov_b32_e32 v4, s7
	s_sleep 1
	global_store_dwordx2 v[0:1], v[5:6], off
	s_waitcnt_vscnt null, 0x0
	global_atomic_cmpswap_x2 v[3:4], v7, v[3:6], s[2:3] offset:32 glc
	s_waitcnt vmcnt(0)
	v_cmp_eq_u64_e32 vcc_lo, v[3:4], v[5:6]
	v_mov_b32_e32 v6, v4
	v_mov_b32_e32 v5, v3
	s_or_b32 s9, vcc_lo, s9
	s_andn2_b32 exec_lo, exec_lo, s9
	s_cbranch_execnz .LBB4_584
.LBB4_585:
	s_or_b32 exec_lo, exec_lo, s8
	v_mov_b32_e32 v4, 0
	s_mov_b32 s9, exec_lo
	s_mov_b32 s8, exec_lo
	v_mbcnt_lo_u32_b32 v3, s9, 0
	global_load_dwordx2 v[0:1], v4, s[2:3] offset:16
	v_cmpx_eq_u32_e32 0, v3
	s_cbranch_execz .LBB4_587
; %bb.586:
	s_bcnt1_i32_b32 s9, s9
	v_mov_b32_e32 v3, s9
	s_waitcnt vmcnt(0)
	global_atomic_add_x2 v[0:1], v[3:4], off offset:8
.LBB4_587:
	s_or_b32 exec_lo, exec_lo, s8
	s_waitcnt vmcnt(0)
	global_load_dwordx2 v[3:4], v[0:1], off offset:16
	s_waitcnt vmcnt(0)
	v_cmp_eq_u64_e32 vcc_lo, 0, v[3:4]
	s_cbranch_vccnz .LBB4_589
; %bb.588:
	global_load_dword v0, v[0:1], off offset:24
	v_mov_b32_e32 v1, 0
	s_waitcnt vmcnt(0)
	v_readfirstlane_b32 s8, v0
	s_waitcnt_vscnt null, 0x0
	global_store_dwordx2 v[3:4], v[0:1], off
	s_and_b32 m0, s8, 0x7fffff
	s_sendmsg sendmsg(MSG_INTERRUPT)
.LBB4_589:
	s_or_b32 exec_lo, exec_lo, s0
	s_branch .LBB4_593
	.p2align	6
.LBB4_590:                              ;   in Loop: Header=BB4_593 Depth=1
	s_or_b32 exec_lo, exec_lo, s0
	v_readfirstlane_b32 s0, v0
	s_cmp_eq_u32 s0, 0
	s_cbranch_scc1 .LBB4_592
; %bb.591:                              ;   in Loop: Header=BB4_593 Depth=1
	s_sleep 1
	s_cbranch_execnz .LBB4_593
	s_branch .LBB4_595
	.p2align	6
.LBB4_592:
	s_branch .LBB4_595
.LBB4_593:                              ; =>This Inner Loop Header: Depth=1
	v_mov_b32_e32 v0, 1
	s_and_saveexec_b32 s0, s1
	s_cbranch_execz .LBB4_590
; %bb.594:                              ;   in Loop: Header=BB4_593 Depth=1
	global_load_dword v0, v[8:9], off offset:20 glc dlc
	s_waitcnt vmcnt(0)
	buffer_gl1_inv
	buffer_gl0_inv
	v_and_b32_e32 v0, 1, v0
	s_branch .LBB4_590
.LBB4_595:
	global_load_dwordx2 v[3:4], v[10:11], off
	s_and_saveexec_b32 s8, s1
	s_cbranch_execz .LBB4_599
; %bb.596:
	v_mov_b32_e32 v9, 0
	s_clause 0x2
	global_load_dwordx2 v[0:1], v9, s[2:3] offset:40
	global_load_dwordx2 v[12:13], v9, s[2:3] offset:24 glc dlc
	global_load_dwordx2 v[5:6], v9, s[2:3]
	s_waitcnt vmcnt(2)
	v_readfirstlane_b32 s10, v0
	v_readfirstlane_b32 s11, v1
	s_add_u32 s9, s10, 1
	s_addc_u32 s12, s11, 0
	s_add_u32 s0, s9, s6
	s_addc_u32 s1, s12, s7
	s_cmp_eq_u64 s[0:1], 0
	s_cselect_b32 s1, s12, s1
	s_cselect_b32 s0, s9, s0
	v_mov_b32_e32 v11, s1
	s_and_b64 s[6:7], s[0:1], s[10:11]
	v_mov_b32_e32 v10, s0
	s_mul_i32 s7, s7, 24
	s_mul_hi_u32 s9, s6, 24
	s_mul_i32 s6, s6, 24
	s_add_i32 s9, s9, s7
	s_waitcnt vmcnt(0)
	v_add_co_u32 v0, vcc_lo, v5, s6
	v_add_co_ci_u32_e64 v1, null, s9, v6, vcc_lo
	global_store_dwordx2 v[0:1], v[12:13], off
	s_waitcnt_vscnt null, 0x0
	global_atomic_cmpswap_x2 v[7:8], v9, v[10:13], s[2:3] offset:24 glc
	s_waitcnt vmcnt(0)
	v_cmp_ne_u64_e32 vcc_lo, v[7:8], v[12:13]
	s_and_b32 exec_lo, exec_lo, vcc_lo
	s_cbranch_execz .LBB4_599
; %bb.597:
	s_mov_b32 s6, 0
.LBB4_598:                              ; =>This Inner Loop Header: Depth=1
	v_mov_b32_e32 v5, s0
	v_mov_b32_e32 v6, s1
	s_sleep 1
	global_store_dwordx2 v[0:1], v[7:8], off
	s_waitcnt_vscnt null, 0x0
	global_atomic_cmpswap_x2 v[5:6], v9, v[5:8], s[2:3] offset:24 glc
	s_waitcnt vmcnt(0)
	v_cmp_eq_u64_e32 vcc_lo, v[5:6], v[7:8]
	v_mov_b32_e32 v8, v6
	v_mov_b32_e32 v7, v5
	s_or_b32 s6, vcc_lo, s6
	s_andn2_b32 exec_lo, exec_lo, s6
	s_cbranch_execnz .LBB4_598
.LBB4_599:
	s_or_b32 exec_lo, exec_lo, s8
	v_readfirstlane_b32 s0, v31
	v_mov_b32_e32 v0, 0
	v_mov_b32_e32 v1, 0
	v_cmp_eq_u32_e64 s0, s0, v31
	s_and_saveexec_b32 s1, s0
	s_cbranch_execz .LBB4_605
; %bb.600:
	v_mov_b32_e32 v5, 0
	s_mov_b32 s6, exec_lo
	global_load_dwordx2 v[8:9], v5, s[2:3] offset:24 glc dlc
	s_waitcnt vmcnt(0)
	buffer_gl1_inv
	buffer_gl0_inv
	s_clause 0x1
	global_load_dwordx2 v[0:1], v5, s[2:3] offset:40
	global_load_dwordx2 v[6:7], v5, s[2:3]
	s_waitcnt vmcnt(1)
	v_and_b32_e32 v1, v1, v9
	v_and_b32_e32 v0, v0, v8
	v_mul_lo_u32 v1, v1, 24
	v_mul_hi_u32 v10, v0, 24
	v_mul_lo_u32 v0, v0, 24
	v_add_nc_u32_e32 v1, v10, v1
	s_waitcnt vmcnt(0)
	v_add_co_u32 v0, vcc_lo, v6, v0
	v_add_co_ci_u32_e64 v1, null, v7, v1, vcc_lo
	global_load_dwordx2 v[6:7], v[0:1], off glc dlc
	s_waitcnt vmcnt(0)
	global_atomic_cmpswap_x2 v[0:1], v5, v[6:9], s[2:3] offset:24 glc
	s_waitcnt vmcnt(0)
	buffer_gl1_inv
	buffer_gl0_inv
	v_cmpx_ne_u64_e64 v[0:1], v[8:9]
	s_cbranch_execz .LBB4_604
; %bb.601:
	s_mov_b32 s7, 0
	.p2align	6
.LBB4_602:                              ; =>This Inner Loop Header: Depth=1
	s_sleep 1
	s_clause 0x1
	global_load_dwordx2 v[6:7], v5, s[2:3] offset:40
	global_load_dwordx2 v[10:11], v5, s[2:3]
	v_mov_b32_e32 v9, v1
	v_mov_b32_e32 v8, v0
	s_waitcnt vmcnt(1)
	v_and_b32_e32 v0, v6, v8
	v_and_b32_e32 v6, v7, v9
	s_waitcnt vmcnt(0)
	v_mad_u64_u32 v[0:1], null, v0, 24, v[10:11]
	v_mad_u64_u32 v[6:7], null, v6, 24, v[1:2]
	v_mov_b32_e32 v1, v6
	global_load_dwordx2 v[6:7], v[0:1], off glc dlc
	s_waitcnt vmcnt(0)
	global_atomic_cmpswap_x2 v[0:1], v5, v[6:9], s[2:3] offset:24 glc
	s_waitcnt vmcnt(0)
	buffer_gl1_inv
	buffer_gl0_inv
	v_cmp_eq_u64_e32 vcc_lo, v[0:1], v[8:9]
	s_or_b32 s7, vcc_lo, s7
	s_andn2_b32 exec_lo, exec_lo, s7
	s_cbranch_execnz .LBB4_602
; %bb.603:
	s_or_b32 exec_lo, exec_lo, s7
.LBB4_604:
	s_or_b32 exec_lo, exec_lo, s6
.LBB4_605:
	s_or_b32 exec_lo, exec_lo, s1
	v_mov_b32_e32 v6, 0
	v_readfirstlane_b32 s7, v1
	v_readfirstlane_b32 s6, v0
	s_mov_b32 s1, exec_lo
	s_clause 0x1
	global_load_dwordx2 v[11:12], v6, s[2:3] offset:40
	global_load_dwordx4 v[7:10], v6, s[2:3]
	s_waitcnt vmcnt(1)
	v_readfirstlane_b32 s8, v11
	v_readfirstlane_b32 s9, v12
	s_and_b64 s[8:9], s[8:9], s[6:7]
	s_mul_i32 s10, s9, 24
	s_mul_hi_u32 s11, s8, 24
	s_mul_i32 s12, s8, 24
	s_add_i32 s11, s11, s10
	s_waitcnt vmcnt(0)
	v_add_co_u32 v0, vcc_lo, v7, s12
	v_add_co_ci_u32_e64 v1, null, s11, v8, vcc_lo
	s_and_saveexec_b32 s10, s0
	s_cbranch_execz .LBB4_607
; %bb.606:
	v_mov_b32_e32 v5, s1
	v_mov_b32_e32 v12, v6
	;; [unrolled: 1-line block ×5, first 2 shown]
	global_store_dwordx4 v[0:1], v[11:14], off offset:8
.LBB4_607:
	s_or_b32 exec_lo, exec_lo, s10
	s_lshl_b64 s[8:9], s[8:9], 12
	v_lshrrev_b32_e32 v5, 3, v26
	v_add_co_u32 v9, vcc_lo, v9, s8
	v_add_co_ci_u32_e64 v11, null, s9, v10, vcc_lo
	s_mov_b32 s8, 0
	v_add_co_u32 v10, vcc_lo, v9, v30
	s_mov_b32 s11, s8
	s_mov_b32 s9, s8
	;; [unrolled: 1-line block ×3, first 2 shown]
	v_and_or_b32 v3, 0xffffff1f, v3, 32
	v_readfirstlane_b32 s12, v9
	v_readfirstlane_b32 s13, v11
	v_mov_b32_e32 v15, s11
	v_add_co_ci_u32_e64 v11, null, 0, v11, vcc_lo
	v_mov_b32_e32 v14, s10
	v_mov_b32_e32 v13, s9
	;; [unrolled: 1-line block ×3, first 2 shown]
	global_store_dwordx4 v30, v[3:6], s[12:13]
	global_store_dwordx4 v30, v[12:15], s[12:13] offset:16
	global_store_dwordx4 v30, v[12:15], s[12:13] offset:32
	;; [unrolled: 1-line block ×3, first 2 shown]
	s_and_saveexec_b32 s1, s0
	s_cbranch_execz .LBB4_615
; %bb.608:
	v_mov_b32_e32 v12, 0
	v_mov_b32_e32 v13, s6
	;; [unrolled: 1-line block ×3, first 2 shown]
	s_clause 0x1
	global_load_dwordx2 v[15:16], v12, s[2:3] offset:32 glc dlc
	global_load_dwordx2 v[3:4], v12, s[2:3] offset:40
	s_waitcnt vmcnt(0)
	v_readfirstlane_b32 s8, v3
	v_readfirstlane_b32 s9, v4
	s_and_b64 s[8:9], s[8:9], s[6:7]
	s_mul_i32 s9, s9, 24
	s_mul_hi_u32 s10, s8, 24
	s_mul_i32 s8, s8, 24
	s_add_i32 s10, s10, s9
	v_add_co_u32 v3, vcc_lo, v7, s8
	v_add_co_ci_u32_e64 v4, null, s10, v8, vcc_lo
	s_mov_b32 s8, exec_lo
	global_store_dwordx2 v[3:4], v[15:16], off
	s_waitcnt_vscnt null, 0x0
	global_atomic_cmpswap_x2 v[8:9], v12, v[13:16], s[2:3] offset:32 glc
	s_waitcnt vmcnt(0)
	v_cmpx_ne_u64_e64 v[8:9], v[15:16]
	s_cbranch_execz .LBB4_611
; %bb.609:
	s_mov_b32 s9, 0
.LBB4_610:                              ; =>This Inner Loop Header: Depth=1
	v_mov_b32_e32 v6, s6
	v_mov_b32_e32 v7, s7
	s_sleep 1
	global_store_dwordx2 v[3:4], v[8:9], off
	s_waitcnt_vscnt null, 0x0
	global_atomic_cmpswap_x2 v[6:7], v12, v[6:9], s[2:3] offset:32 glc
	s_waitcnt vmcnt(0)
	v_cmp_eq_u64_e32 vcc_lo, v[6:7], v[8:9]
	v_mov_b32_e32 v9, v7
	v_mov_b32_e32 v8, v6
	s_or_b32 s9, vcc_lo, s9
	s_andn2_b32 exec_lo, exec_lo, s9
	s_cbranch_execnz .LBB4_610
.LBB4_611:
	s_or_b32 exec_lo, exec_lo, s8
	v_mov_b32_e32 v7, 0
	s_mov_b32 s9, exec_lo
	s_mov_b32 s8, exec_lo
	v_mbcnt_lo_u32_b32 v6, s9, 0
	global_load_dwordx2 v[3:4], v7, s[2:3] offset:16
	v_cmpx_eq_u32_e32 0, v6
	s_cbranch_execz .LBB4_613
; %bb.612:
	s_bcnt1_i32_b32 s9, s9
	v_mov_b32_e32 v6, s9
	s_waitcnt vmcnt(0)
	global_atomic_add_x2 v[3:4], v[6:7], off offset:8
.LBB4_613:
	s_or_b32 exec_lo, exec_lo, s8
	s_waitcnt vmcnt(0)
	global_load_dwordx2 v[6:7], v[3:4], off offset:16
	s_waitcnt vmcnt(0)
	v_cmp_eq_u64_e32 vcc_lo, 0, v[6:7]
	s_cbranch_vccnz .LBB4_615
; %bb.614:
	global_load_dword v3, v[3:4], off offset:24
	v_mov_b32_e32 v4, 0
	s_waitcnt vmcnt(0)
	v_readfirstlane_b32 s8, v3
	s_waitcnt_vscnt null, 0x0
	global_store_dwordx2 v[6:7], v[3:4], off
	s_and_b32 m0, s8, 0x7fffff
	s_sendmsg sendmsg(MSG_INTERRUPT)
.LBB4_615:
	s_or_b32 exec_lo, exec_lo, s1
	s_branch .LBB4_619
	.p2align	6
.LBB4_616:                              ;   in Loop: Header=BB4_619 Depth=1
	s_or_b32 exec_lo, exec_lo, s1
	v_readfirstlane_b32 s1, v3
	s_cmp_eq_u32 s1, 0
	s_cbranch_scc1 .LBB4_618
; %bb.617:                              ;   in Loop: Header=BB4_619 Depth=1
	s_sleep 1
	s_cbranch_execnz .LBB4_619
	s_branch .LBB4_621
	.p2align	6
.LBB4_618:
	s_branch .LBB4_621
.LBB4_619:                              ; =>This Inner Loop Header: Depth=1
	v_mov_b32_e32 v3, 1
	s_and_saveexec_b32 s1, s0
	s_cbranch_execz .LBB4_616
; %bb.620:                              ;   in Loop: Header=BB4_619 Depth=1
	global_load_dword v3, v[0:1], off offset:20 glc dlc
	s_waitcnt vmcnt(0)
	buffer_gl1_inv
	buffer_gl0_inv
	v_and_b32_e32 v3, 1, v3
	s_branch .LBB4_616
.LBB4_621:
	global_load_dwordx2 v[6:7], v[10:11], off
	s_and_saveexec_b32 s8, s0
	s_cbranch_execz .LBB4_625
; %bb.622:
	v_mov_b32_e32 v3, 0
	s_clause 0x2
	global_load_dwordx2 v[0:1], v3, s[2:3] offset:40
	global_load_dwordx2 v[12:13], v3, s[2:3] offset:24 glc dlc
	global_load_dwordx2 v[8:9], v3, s[2:3]
	s_waitcnt vmcnt(2)
	v_readfirstlane_b32 s10, v0
	v_readfirstlane_b32 s11, v1
	s_add_u32 s9, s10, 1
	s_addc_u32 s12, s11, 0
	s_add_u32 s0, s9, s6
	s_addc_u32 s1, s12, s7
	s_cmp_eq_u64 s[0:1], 0
	s_cselect_b32 s1, s12, s1
	s_cselect_b32 s0, s9, s0
	v_mov_b32_e32 v11, s1
	s_and_b64 s[6:7], s[0:1], s[10:11]
	v_mov_b32_e32 v10, s0
	s_mul_i32 s7, s7, 24
	s_mul_hi_u32 s9, s6, 24
	s_mul_i32 s6, s6, 24
	s_add_i32 s9, s9, s7
	s_waitcnt vmcnt(0)
	v_add_co_u32 v0, vcc_lo, v8, s6
	v_add_co_ci_u32_e64 v1, null, s9, v9, vcc_lo
	global_store_dwordx2 v[0:1], v[12:13], off
	s_waitcnt_vscnt null, 0x0
	global_atomic_cmpswap_x2 v[10:11], v3, v[10:13], s[2:3] offset:24 glc
	s_waitcnt vmcnt(0)
	v_cmp_ne_u64_e32 vcc_lo, v[10:11], v[12:13]
	s_and_b32 exec_lo, exec_lo, vcc_lo
	s_cbranch_execz .LBB4_625
; %bb.623:
	s_mov_b32 s6, 0
.LBB4_624:                              ; =>This Inner Loop Header: Depth=1
	v_mov_b32_e32 v8, s0
	v_mov_b32_e32 v9, s1
	s_sleep 1
	global_store_dwordx2 v[0:1], v[10:11], off
	s_waitcnt_vscnt null, 0x0
	global_atomic_cmpswap_x2 v[8:9], v3, v[8:11], s[2:3] offset:24 glc
	s_waitcnt vmcnt(0)
	v_cmp_eq_u64_e32 vcc_lo, v[8:9], v[10:11]
	v_mov_b32_e32 v11, v9
	v_mov_b32_e32 v10, v8
	s_or_b32 s6, vcc_lo, s6
	s_andn2_b32 exec_lo, exec_lo, s6
	s_cbranch_execnz .LBB4_624
.LBB4_625:
	s_or_b32 exec_lo, exec_lo, s8
	v_readfirstlane_b32 s0, v31
	v_mov_b32_e32 v0, 0
	v_mov_b32_e32 v1, 0
	v_cmp_eq_u32_e64 s0, s0, v31
	s_and_saveexec_b32 s1, s0
	s_cbranch_execz .LBB4_631
; %bb.626:
	v_mov_b32_e32 v3, 0
	s_mov_b32 s6, exec_lo
	global_load_dwordx2 v[10:11], v3, s[2:3] offset:24 glc dlc
	s_waitcnt vmcnt(0)
	buffer_gl1_inv
	buffer_gl0_inv
	s_clause 0x1
	global_load_dwordx2 v[0:1], v3, s[2:3] offset:40
	global_load_dwordx2 v[8:9], v3, s[2:3]
	s_waitcnt vmcnt(1)
	v_and_b32_e32 v1, v1, v11
	v_and_b32_e32 v0, v0, v10
	v_mul_lo_u32 v1, v1, 24
	v_mul_hi_u32 v4, v0, 24
	v_mul_lo_u32 v0, v0, 24
	v_add_nc_u32_e32 v1, v4, v1
	s_waitcnt vmcnt(0)
	v_add_co_u32 v0, vcc_lo, v8, v0
	v_add_co_ci_u32_e64 v1, null, v9, v1, vcc_lo
	global_load_dwordx2 v[8:9], v[0:1], off glc dlc
	s_waitcnt vmcnt(0)
	global_atomic_cmpswap_x2 v[0:1], v3, v[8:11], s[2:3] offset:24 glc
	s_waitcnt vmcnt(0)
	buffer_gl1_inv
	buffer_gl0_inv
	v_cmpx_ne_u64_e64 v[0:1], v[10:11]
	s_cbranch_execz .LBB4_630
; %bb.627:
	s_mov_b32 s7, 0
	.p2align	6
.LBB4_628:                              ; =>This Inner Loop Header: Depth=1
	s_sleep 1
	s_clause 0x1
	global_load_dwordx2 v[8:9], v3, s[2:3] offset:40
	global_load_dwordx2 v[12:13], v3, s[2:3]
	v_mov_b32_e32 v11, v1
	v_mov_b32_e32 v10, v0
	s_waitcnt vmcnt(1)
	v_and_b32_e32 v0, v8, v10
	v_and_b32_e32 v4, v9, v11
	s_waitcnt vmcnt(0)
	v_mad_u64_u32 v[0:1], null, v0, 24, v[12:13]
	v_mad_u64_u32 v[8:9], null, v4, 24, v[1:2]
	v_mov_b32_e32 v1, v8
	global_load_dwordx2 v[8:9], v[0:1], off glc dlc
	s_waitcnt vmcnt(0)
	global_atomic_cmpswap_x2 v[0:1], v3, v[8:11], s[2:3] offset:24 glc
	s_waitcnt vmcnt(0)
	buffer_gl1_inv
	buffer_gl0_inv
	v_cmp_eq_u64_e32 vcc_lo, v[0:1], v[10:11]
	s_or_b32 s7, vcc_lo, s7
	s_andn2_b32 exec_lo, exec_lo, s7
	s_cbranch_execnz .LBB4_628
; %bb.629:
	s_or_b32 exec_lo, exec_lo, s7
.LBB4_630:
	s_or_b32 exec_lo, exec_lo, s6
.LBB4_631:
	s_or_b32 exec_lo, exec_lo, s1
	v_mov_b32_e32 v9, 0
	v_readfirstlane_b32 s7, v1
	v_readfirstlane_b32 s6, v0
	s_mov_b32 s1, exec_lo
	s_clause 0x1
	global_load_dwordx2 v[3:4], v9, s[2:3] offset:40
	global_load_dwordx4 v[10:13], v9, s[2:3]
	s_waitcnt vmcnt(1)
	v_readfirstlane_b32 s8, v3
	v_readfirstlane_b32 s9, v4
	s_and_b64 s[8:9], s[8:9], s[6:7]
	s_mul_i32 s10, s9, 24
	s_mul_hi_u32 s11, s8, 24
	s_mul_i32 s12, s8, 24
	s_add_i32 s11, s11, s10
	s_waitcnt vmcnt(0)
	v_add_co_u32 v0, vcc_lo, v10, s12
	v_add_co_ci_u32_e64 v1, null, s11, v11, vcc_lo
	s_and_saveexec_b32 s10, s0
	s_cbranch_execz .LBB4_633
; %bb.632:
	v_mov_b32_e32 v8, s1
	v_mov_b32_e32 v15, v9
	;; [unrolled: 1-line block ×5, first 2 shown]
	global_store_dwordx4 v[0:1], v[14:17], off offset:8
.LBB4_633:
	s_or_b32 exec_lo, exec_lo, s10
	s_lshl_b64 s[8:9], s[8:9], 12
	s_add_i32 s20, s20, 7
	v_add_co_u32 v3, vcc_lo, v12, s8
	v_add_co_ci_u32_e64 v4, null, s9, v13, vcc_lo
	s_mov_b32 s8, 0
	s_lshr_b32 s1, s20, 3
	s_mov_b32 s11, s8
	s_mov_b32 s9, s8
	;; [unrolled: 1-line block ×3, first 2 shown]
	v_and_or_b32 v6, 0xffffff1d, v6, 34
	v_mov_b32_e32 v8, s1
	v_readfirstlane_b32 s12, v3
	v_readfirstlane_b32 s13, v4
	v_mov_b32_e32 v15, s11
	v_mov_b32_e32 v14, s10
	v_mov_b32_e32 v13, s9
	v_mov_b32_e32 v12, s8
	global_store_dwordx4 v30, v[6:9], s[12:13]
	global_store_dwordx4 v30, v[12:15], s[12:13] offset:16
	global_store_dwordx4 v30, v[12:15], s[12:13] offset:32
	;; [unrolled: 1-line block ×3, first 2 shown]
	s_and_saveexec_b32 s1, s0
	s_cbranch_execz .LBB4_641
; %bb.634:
	v_mov_b32_e32 v12, 0
	v_mov_b32_e32 v13, s6
	;; [unrolled: 1-line block ×3, first 2 shown]
	s_clause 0x1
	global_load_dwordx2 v[15:16], v12, s[2:3] offset:32 glc dlc
	global_load_dwordx2 v[3:4], v12, s[2:3] offset:40
	s_waitcnt vmcnt(0)
	v_readfirstlane_b32 s8, v3
	v_readfirstlane_b32 s9, v4
	s_and_b64 s[8:9], s[8:9], s[6:7]
	s_mul_i32 s9, s9, 24
	s_mul_hi_u32 s10, s8, 24
	s_mul_i32 s8, s8, 24
	s_add_i32 s10, s10, s9
	v_add_co_u32 v3, vcc_lo, v10, s8
	v_add_co_ci_u32_e64 v4, null, s10, v11, vcc_lo
	s_mov_b32 s8, exec_lo
	global_store_dwordx2 v[3:4], v[15:16], off
	s_waitcnt_vscnt null, 0x0
	global_atomic_cmpswap_x2 v[8:9], v12, v[13:16], s[2:3] offset:32 glc
	s_waitcnt vmcnt(0)
	v_cmpx_ne_u64_e64 v[8:9], v[15:16]
	s_cbranch_execz .LBB4_637
; %bb.635:
	s_mov_b32 s9, 0
.LBB4_636:                              ; =>This Inner Loop Header: Depth=1
	v_mov_b32_e32 v6, s6
	v_mov_b32_e32 v7, s7
	s_sleep 1
	global_store_dwordx2 v[3:4], v[8:9], off
	s_waitcnt_vscnt null, 0x0
	global_atomic_cmpswap_x2 v[6:7], v12, v[6:9], s[2:3] offset:32 glc
	s_waitcnt vmcnt(0)
	v_cmp_eq_u64_e32 vcc_lo, v[6:7], v[8:9]
	v_mov_b32_e32 v9, v7
	v_mov_b32_e32 v8, v6
	s_or_b32 s9, vcc_lo, s9
	s_andn2_b32 exec_lo, exec_lo, s9
	s_cbranch_execnz .LBB4_636
.LBB4_637:
	s_or_b32 exec_lo, exec_lo, s8
	v_mov_b32_e32 v7, 0
	s_mov_b32 s9, exec_lo
	s_mov_b32 s8, exec_lo
	v_mbcnt_lo_u32_b32 v6, s9, 0
	global_load_dwordx2 v[3:4], v7, s[2:3] offset:16
	v_cmpx_eq_u32_e32 0, v6
	s_cbranch_execz .LBB4_639
; %bb.638:
	s_bcnt1_i32_b32 s9, s9
	v_mov_b32_e32 v6, s9
	s_waitcnt vmcnt(0)
	global_atomic_add_x2 v[3:4], v[6:7], off offset:8
.LBB4_639:
	s_or_b32 exec_lo, exec_lo, s8
	s_waitcnt vmcnt(0)
	global_load_dwordx2 v[6:7], v[3:4], off offset:16
	s_waitcnt vmcnt(0)
	v_cmp_eq_u64_e32 vcc_lo, 0, v[6:7]
	s_cbranch_vccnz .LBB4_641
; %bb.640:
	global_load_dword v3, v[3:4], off offset:24
	v_mov_b32_e32 v4, 0
	s_waitcnt vmcnt(0)
	v_readfirstlane_b32 s8, v3
	s_waitcnt_vscnt null, 0x0
	global_store_dwordx2 v[6:7], v[3:4], off
	s_and_b32 m0, s8, 0x7fffff
	s_sendmsg sendmsg(MSG_INTERRUPT)
.LBB4_641:
	s_or_b32 exec_lo, exec_lo, s1
	s_branch .LBB4_645
	.p2align	6
.LBB4_642:                              ;   in Loop: Header=BB4_645 Depth=1
	s_or_b32 exec_lo, exec_lo, s1
	v_readfirstlane_b32 s1, v3
	s_cmp_eq_u32 s1, 0
	s_cbranch_scc1 .LBB4_644
; %bb.643:                              ;   in Loop: Header=BB4_645 Depth=1
	s_sleep 1
	s_cbranch_execnz .LBB4_645
	s_branch .LBB4_647
	.p2align	6
.LBB4_644:
	s_branch .LBB4_647
.LBB4_645:                              ; =>This Inner Loop Header: Depth=1
	v_mov_b32_e32 v3, 1
	s_and_saveexec_b32 s1, s0
	s_cbranch_execz .LBB4_642
; %bb.646:                              ;   in Loop: Header=BB4_645 Depth=1
	global_load_dword v3, v[0:1], off offset:20 glc dlc
	s_waitcnt vmcnt(0)
	buffer_gl1_inv
	buffer_gl0_inv
	v_and_b32_e32 v3, 1, v3
	s_branch .LBB4_642
.LBB4_647:
	s_and_saveexec_b32 s8, s0
	s_cbranch_execz .LBB4_651
; %bb.648:
	v_mov_b32_e32 v3, 0
	s_clause 0x2
	global_load_dwordx2 v[0:1], v3, s[2:3] offset:40
	global_load_dwordx2 v[10:11], v3, s[2:3] offset:24 glc dlc
	global_load_dwordx2 v[6:7], v3, s[2:3]
	s_waitcnt vmcnt(2)
	v_readfirstlane_b32 s10, v0
	v_readfirstlane_b32 s11, v1
	s_add_u32 s9, s10, 1
	s_addc_u32 s12, s11, 0
	s_add_u32 s0, s9, s6
	s_addc_u32 s1, s12, s7
	s_cmp_eq_u64 s[0:1], 0
	s_cselect_b32 s1, s12, s1
	s_cselect_b32 s0, s9, s0
	v_mov_b32_e32 v9, s1
	s_and_b64 s[6:7], s[0:1], s[10:11]
	v_mov_b32_e32 v8, s0
	s_mul_i32 s7, s7, 24
	s_mul_hi_u32 s9, s6, 24
	s_mul_i32 s6, s6, 24
	s_add_i32 s9, s9, s7
	s_waitcnt vmcnt(0)
	v_add_co_u32 v0, vcc_lo, v6, s6
	v_add_co_ci_u32_e64 v1, null, s9, v7, vcc_lo
	global_store_dwordx2 v[0:1], v[10:11], off
	s_waitcnt_vscnt null, 0x0
	global_atomic_cmpswap_x2 v[8:9], v3, v[8:11], s[2:3] offset:24 glc
	s_waitcnt vmcnt(0)
	v_cmp_ne_u64_e32 vcc_lo, v[8:9], v[10:11]
	s_and_b32 exec_lo, exec_lo, vcc_lo
	s_cbranch_execz .LBB4_651
; %bb.649:
	s_mov_b32 s6, 0
.LBB4_650:                              ; =>This Inner Loop Header: Depth=1
	v_mov_b32_e32 v6, s0
	v_mov_b32_e32 v7, s1
	s_sleep 1
	global_store_dwordx2 v[0:1], v[8:9], off
	s_waitcnt_vscnt null, 0x0
	global_atomic_cmpswap_x2 v[6:7], v3, v[6:9], s[2:3] offset:24 glc
	s_waitcnt vmcnt(0)
	v_cmp_eq_u64_e32 vcc_lo, v[6:7], v[8:9]
	v_mov_b32_e32 v9, v7
	v_mov_b32_e32 v8, v6
	s_or_b32 s6, vcc_lo, s6
	s_andn2_b32 exec_lo, exec_lo, s6
	s_cbranch_execnz .LBB4_650
.LBB4_651:
	s_or_b32 exec_lo, exec_lo, s8
	s_load_dwordx2 s[0:1], s[4:5], 0x0
	v_lshlrev_b32_e32 v0, 2, v5
	s_waitcnt lgkmcnt(0)
	global_store_dword v0, v2, s[0:1]
	s_endpgm
	.section	.rodata,"a",@progbits
	.p2align	6, 0x0
	.amdhsa_kernel _Z32kernel_cg_group_partition_staticILj8EEvPibS0_
		.amdhsa_group_segment_fixed_size 0
		.amdhsa_private_segment_fixed_size 0
		.amdhsa_kernarg_size 280
		.amdhsa_user_sgpr_count 6
		.amdhsa_user_sgpr_private_segment_buffer 1
		.amdhsa_user_sgpr_dispatch_ptr 0
		.amdhsa_user_sgpr_queue_ptr 0
		.amdhsa_user_sgpr_kernarg_segment_ptr 1
		.amdhsa_user_sgpr_dispatch_id 0
		.amdhsa_user_sgpr_flat_scratch_init 0
		.amdhsa_user_sgpr_private_segment_size 0
		.amdhsa_wavefront_size32 1
		.amdhsa_uses_dynamic_stack 0
		.amdhsa_system_sgpr_private_segment_wavefront_offset 0
		.amdhsa_system_sgpr_workgroup_id_x 1
		.amdhsa_system_sgpr_workgroup_id_y 0
		.amdhsa_system_sgpr_workgroup_id_z 0
		.amdhsa_system_sgpr_workgroup_info 0
		.amdhsa_system_vgpr_workitem_id 2
		.amdhsa_next_free_vgpr 36
		.amdhsa_next_free_sgpr 28
		.amdhsa_reserve_vcc 1
		.amdhsa_reserve_flat_scratch 0
		.amdhsa_float_round_mode_32 0
		.amdhsa_float_round_mode_16_64 0
		.amdhsa_float_denorm_mode_32 3
		.amdhsa_float_denorm_mode_16_64 3
		.amdhsa_dx10_clamp 1
		.amdhsa_ieee_mode 1
		.amdhsa_fp16_overflow 0
		.amdhsa_workgroup_processor_mode 1
		.amdhsa_memory_ordered 1
		.amdhsa_forward_progress 1
		.amdhsa_shared_vgpr_count 0
		.amdhsa_exception_fp_ieee_invalid_op 0
		.amdhsa_exception_fp_denorm_src 0
		.amdhsa_exception_fp_ieee_div_zero 0
		.amdhsa_exception_fp_ieee_overflow 0
		.amdhsa_exception_fp_ieee_underflow 0
		.amdhsa_exception_fp_ieee_inexact 0
		.amdhsa_exception_int_div_zero 0
	.end_amdhsa_kernel
	.section	.text._Z32kernel_cg_group_partition_staticILj8EEvPibS0_,"axG",@progbits,_Z32kernel_cg_group_partition_staticILj8EEvPibS0_,comdat
.Lfunc_end4:
	.size	_Z32kernel_cg_group_partition_staticILj8EEvPibS0_, .Lfunc_end4-_Z32kernel_cg_group_partition_staticILj8EEvPibS0_
                                        ; -- End function
	.set _Z32kernel_cg_group_partition_staticILj8EEvPibS0_.num_vgpr, 36
	.set _Z32kernel_cg_group_partition_staticILj8EEvPibS0_.num_agpr, 0
	.set _Z32kernel_cg_group_partition_staticILj8EEvPibS0_.numbered_sgpr, 28
	.set _Z32kernel_cg_group_partition_staticILj8EEvPibS0_.num_named_barrier, 0
	.set _Z32kernel_cg_group_partition_staticILj8EEvPibS0_.private_seg_size, 0
	.set _Z32kernel_cg_group_partition_staticILj8EEvPibS0_.uses_vcc, 1
	.set _Z32kernel_cg_group_partition_staticILj8EEvPibS0_.uses_flat_scratch, 0
	.set _Z32kernel_cg_group_partition_staticILj8EEvPibS0_.has_dyn_sized_stack, 0
	.set _Z32kernel_cg_group_partition_staticILj8EEvPibS0_.has_recursion, 0
	.set _Z32kernel_cg_group_partition_staticILj8EEvPibS0_.has_indirect_call, 0
	.section	.AMDGPU.csdata,"",@progbits
; Kernel info:
; codeLenInByte = 28152
; TotalNumSgprs: 30
; NumVgprs: 36
; ScratchSize: 0
; MemoryBound: 0
; FloatMode: 240
; IeeeMode: 1
; LDSByteSize: 0 bytes/workgroup (compile time only)
; SGPRBlocks: 0
; VGPRBlocks: 4
; NumSGPRsForWavesPerEU: 30
; NumVGPRsForWavesPerEU: 36
; Occupancy: 16
; WaveLimiterHint : 1
; COMPUTE_PGM_RSRC2:SCRATCH_EN: 0
; COMPUTE_PGM_RSRC2:USER_SGPR: 6
; COMPUTE_PGM_RSRC2:TRAP_HANDLER: 0
; COMPUTE_PGM_RSRC2:TGID_X_EN: 1
; COMPUTE_PGM_RSRC2:TGID_Y_EN: 0
; COMPUTE_PGM_RSRC2:TGID_Z_EN: 0
; COMPUTE_PGM_RSRC2:TIDIG_COMP_CNT: 2
	.section	.text._Z32kernel_cg_group_partition_staticILj16EEvPibS0_,"axG",@progbits,_Z32kernel_cg_group_partition_staticILj16EEvPibS0_,comdat
	.protected	_Z32kernel_cg_group_partition_staticILj16EEvPibS0_ ; -- Begin function _Z32kernel_cg_group_partition_staticILj16EEvPibS0_
	.globl	_Z32kernel_cg_group_partition_staticILj16EEvPibS0_
	.p2align	8
	.type	_Z32kernel_cg_group_partition_staticILj16EEvPibS0_,@function
_Z32kernel_cg_group_partition_staticILj16EEvPibS0_: ; @_Z32kernel_cg_group_partition_staticILj16EEvPibS0_
; %bb.0:
	s_mov_b64 s[0:1], src_shared_base
	s_clause 0x2
	s_load_dword s0, s[4:5], 0x8
	s_load_dwordx2 s[6:7], s[4:5], 0x24
	s_load_dwordx2 s[8:9], s[4:5], 0x10
	s_waitcnt lgkmcnt(0)
	s_and_b32 s0, 1, s0
	s_add_u32 s2, s4, 24
	s_addc_u32 s3, s5, 0
	s_lshr_b32 s10, s6, 16
	s_and_b32 s6, s6, 0xffff
	v_mad_u32_u24 v1, v2, s10, v1
	s_and_b32 s7, s7, 0xffff
	s_cmp_lg_u32 0, -1
	s_mul_i32 s20, s10, s6
	s_cselect_b32 s11, 0, 0
	v_mad_u64_u32 v[26:27], null, v1, s6, v[0:1]
	s_cselect_b32 s1, s1, 0
	s_cmp_eq_u32 s0, 1
	s_mul_i32 s20, s20, s7
	s_cselect_b32 s21, s9, s1
	s_cselect_b32 s22, s8, s11
	s_cmp_lt_u32 s20, 2
	v_mov_b32_e32 v29, v26
	v_mov_b32_e32 v32, v26
	s_mov_b32 s1, 0
	s_cbranch_scc1 .LBB5_6
; %bb.1:
	v_ashrrev_i32_e32 v27, 31, v26
	v_mov_b32_e32 v32, v29
	s_mov_b32 s6, s20
	v_lshlrev_b64 v[0:1], 2, v[26:27]
	v_add_co_u32 v0, vcc_lo, s22, v0
	v_add_co_ci_u32_e64 v1, null, s21, v1, vcc_lo
	.p2align	6
.LBB5_2:                                ; =>This Inner Loop Header: Depth=1
	s_lshr_b32 s0, s6, 1
	s_mov_b32 s7, exec_lo
	flat_store_dword v[0:1], v32
	s_waitcnt lgkmcnt(0)
	s_waitcnt_vscnt null, 0x0
	s_barrier
	buffer_gl0_inv
	v_cmpx_gt_i32_e64 s0, v26
	s_cbranch_execz .LBB5_4
; %bb.3:                                ;   in Loop: Header=BB5_2 Depth=1
	s_lshl_b64 s[8:9], s[0:1], 2
	v_add_co_u32 v2, vcc_lo, v0, s8
	v_add_co_ci_u32_e64 v3, null, s9, v1, vcc_lo
	flat_load_dword v2, v[2:3]
	s_waitcnt vmcnt(0) lgkmcnt(0)
	v_add_nc_u32_e32 v32, v2, v32
.LBB5_4:                                ;   in Loop: Header=BB5_2 Depth=1
	s_or_b32 exec_lo, exec_lo, s7
	s_cmp_gt_u32 s6, 3
	s_barrier
	buffer_gl0_inv
	s_cbranch_scc0 .LBB5_6
; %bb.5:                                ;   in Loop: Header=BB5_2 Depth=1
	s_mov_b32 s6, s0
	s_branch .LBB5_2
.LBB5_6:
	v_cmp_eq_u32_e64 s0, 0, v26
	s_and_saveexec_b32 s23, s0
	s_cbranch_execz .LBB5_402
; %bb.7:
	s_load_dwordx2 s[6:7], s[2:3], 0x50
	v_mbcnt_lo_u32_b32 v31, -1, 0
	v_mov_b32_e32 v6, 0
	v_mov_b32_e32 v7, 0
	v_readfirstlane_b32 s1, v31
	v_cmp_eq_u32_e64 s1, s1, v31
	s_and_saveexec_b32 s8, s1
	s_cbranch_execz .LBB5_13
; %bb.8:
	v_mov_b32_e32 v0, 0
	s_mov_b32 s9, exec_lo
	s_waitcnt lgkmcnt(0)
	global_load_dwordx2 v[3:4], v0, s[6:7] offset:24 glc dlc
	s_waitcnt vmcnt(0)
	buffer_gl1_inv
	buffer_gl0_inv
	s_clause 0x1
	global_load_dwordx2 v[1:2], v0, s[6:7] offset:40
	global_load_dwordx2 v[5:6], v0, s[6:7]
	s_waitcnt vmcnt(1)
	v_and_b32_e32 v2, v2, v4
	v_and_b32_e32 v1, v1, v3
	v_mul_lo_u32 v2, v2, 24
	v_mul_hi_u32 v7, v1, 24
	v_mul_lo_u32 v1, v1, 24
	v_add_nc_u32_e32 v2, v7, v2
	s_waitcnt vmcnt(0)
	v_add_co_u32 v1, vcc_lo, v5, v1
	v_add_co_ci_u32_e64 v2, null, v6, v2, vcc_lo
	global_load_dwordx2 v[1:2], v[1:2], off glc dlc
	s_waitcnt vmcnt(0)
	global_atomic_cmpswap_x2 v[6:7], v0, v[1:4], s[6:7] offset:24 glc
	s_waitcnt vmcnt(0)
	buffer_gl1_inv
	buffer_gl0_inv
	v_cmpx_ne_u64_e64 v[6:7], v[3:4]
	s_cbranch_execz .LBB5_12
; %bb.9:
	s_mov_b32 s10, 0
	.p2align	6
.LBB5_10:                               ; =>This Inner Loop Header: Depth=1
	s_sleep 1
	s_clause 0x1
	global_load_dwordx2 v[1:2], v0, s[6:7] offset:40
	global_load_dwordx2 v[8:9], v0, s[6:7]
	v_mov_b32_e32 v3, v6
	v_mov_b32_e32 v4, v7
	s_waitcnt vmcnt(1)
	v_and_b32_e32 v1, v1, v3
	v_and_b32_e32 v2, v2, v4
	s_waitcnt vmcnt(0)
	v_mad_u64_u32 v[5:6], null, v1, 24, v[8:9]
	v_mov_b32_e32 v1, v6
	v_mad_u64_u32 v[1:2], null, v2, 24, v[1:2]
	v_mov_b32_e32 v6, v1
	global_load_dwordx2 v[1:2], v[5:6], off glc dlc
	s_waitcnt vmcnt(0)
	global_atomic_cmpswap_x2 v[6:7], v0, v[1:4], s[6:7] offset:24 glc
	s_waitcnt vmcnt(0)
	buffer_gl1_inv
	buffer_gl0_inv
	v_cmp_eq_u64_e32 vcc_lo, v[6:7], v[3:4]
	s_or_b32 s10, vcc_lo, s10
	s_andn2_b32 exec_lo, exec_lo, s10
	s_cbranch_execnz .LBB5_10
; %bb.11:
	s_or_b32 exec_lo, exec_lo, s10
.LBB5_12:
	s_or_b32 exec_lo, exec_lo, s9
.LBB5_13:
	s_or_b32 exec_lo, exec_lo, s8
	v_mov_b32_e32 v5, 0
	v_readfirstlane_b32 s9, v7
	v_readfirstlane_b32 s8, v6
	s_mov_b32 s12, exec_lo
	s_waitcnt lgkmcnt(0)
	s_clause 0x1
	global_load_dwordx2 v[8:9], v5, s[6:7] offset:40
	global_load_dwordx4 v[0:3], v5, s[6:7]
	s_waitcnt vmcnt(1)
	v_readfirstlane_b32 s10, v8
	v_readfirstlane_b32 s11, v9
	s_and_b64 s[10:11], s[10:11], s[8:9]
	s_mul_i32 s13, s11, 24
	s_mul_hi_u32 s14, s10, 24
	s_mul_i32 s15, s10, 24
	s_add_i32 s14, s14, s13
	s_waitcnt vmcnt(0)
	v_add_co_u32 v8, vcc_lo, v0, s15
	v_add_co_ci_u32_e64 v9, null, s14, v1, vcc_lo
	s_and_saveexec_b32 s13, s1
	s_cbranch_execz .LBB5_15
; %bb.14:
	v_mov_b32_e32 v4, s12
	v_mov_b32_e32 v6, 2
	;; [unrolled: 1-line block ×3, first 2 shown]
	global_store_dwordx4 v[8:9], v[4:7], off offset:8
.LBB5_15:
	s_or_b32 exec_lo, exec_lo, s13
	s_lshl_b64 s[10:11], s[10:11], 12
	v_lshlrev_b32_e32 v30, 6, v31
	v_add_co_u32 v2, vcc_lo, v2, s10
	v_add_co_ci_u32_e64 v3, null, s11, v3, vcc_lo
	s_mov_b32 s12, 0
	v_add_co_u32 v10, vcc_lo, v2, v30
	s_mov_b32 s13, s12
	s_mov_b32 s14, s12
	;; [unrolled: 1-line block ×3, first 2 shown]
	v_mov_b32_e32 v4, 33
	v_mov_b32_e32 v6, v5
	;; [unrolled: 1-line block ×3, first 2 shown]
	v_readfirstlane_b32 s10, v2
	v_readfirstlane_b32 s11, v3
	v_mov_b32_e32 v12, s12
	v_add_co_ci_u32_e64 v11, null, 0, v3, vcc_lo
	v_mov_b32_e32 v13, s13
	v_mov_b32_e32 v14, s14
	;; [unrolled: 1-line block ×3, first 2 shown]
	global_store_dwordx4 v30, v[4:7], s[10:11]
	global_store_dwordx4 v30, v[12:15], s[10:11] offset:16
	global_store_dwordx4 v30, v[12:15], s[10:11] offset:32
	;; [unrolled: 1-line block ×3, first 2 shown]
	s_and_saveexec_b32 s10, s1
	s_cbranch_execz .LBB5_22
; %bb.16:
	v_mov_b32_e32 v6, 0
	v_mov_b32_e32 v12, s8
	;; [unrolled: 1-line block ×3, first 2 shown]
	s_mov_b32 s11, exec_lo
	s_clause 0x1
	global_load_dwordx2 v[14:15], v6, s[6:7] offset:32 glc dlc
	global_load_dwordx2 v[2:3], v6, s[6:7] offset:40
	s_waitcnt vmcnt(0)
	v_and_b32_e32 v3, s9, v3
	v_and_b32_e32 v2, s8, v2
	v_mul_lo_u32 v3, v3, 24
	v_mul_hi_u32 v4, v2, 24
	v_mul_lo_u32 v2, v2, 24
	v_add_nc_u32_e32 v3, v4, v3
	v_add_co_u32 v4, vcc_lo, v0, v2
	v_add_co_ci_u32_e64 v5, null, v1, v3, vcc_lo
	global_store_dwordx2 v[4:5], v[14:15], off
	s_waitcnt_vscnt null, 0x0
	global_atomic_cmpswap_x2 v[2:3], v6, v[12:15], s[6:7] offset:32 glc
	s_waitcnt vmcnt(0)
	v_cmpx_ne_u64_e64 v[2:3], v[14:15]
	s_cbranch_execz .LBB5_18
.LBB5_17:                               ; =>This Inner Loop Header: Depth=1
	v_mov_b32_e32 v0, s8
	v_mov_b32_e32 v1, s9
	s_sleep 1
	global_store_dwordx2 v[4:5], v[2:3], off
	s_waitcnt_vscnt null, 0x0
	global_atomic_cmpswap_x2 v[0:1], v6, v[0:3], s[6:7] offset:32 glc
	s_waitcnt vmcnt(0)
	v_cmp_eq_u64_e32 vcc_lo, v[0:1], v[2:3]
	v_mov_b32_e32 v3, v1
	v_mov_b32_e32 v2, v0
	s_or_b32 s12, vcc_lo, s12
	s_andn2_b32 exec_lo, exec_lo, s12
	s_cbranch_execnz .LBB5_17
.LBB5_18:
	s_or_b32 exec_lo, exec_lo, s11
	v_mov_b32_e32 v3, 0
	s_mov_b32 s12, exec_lo
	s_mov_b32 s11, exec_lo
	v_mbcnt_lo_u32_b32 v2, s12, 0
	global_load_dwordx2 v[0:1], v3, s[6:7] offset:16
	v_cmpx_eq_u32_e32 0, v2
	s_cbranch_execz .LBB5_20
; %bb.19:
	s_bcnt1_i32_b32 s12, s12
	v_mov_b32_e32 v2, s12
	s_waitcnt vmcnt(0)
	global_atomic_add_x2 v[0:1], v[2:3], off offset:8
.LBB5_20:
	s_or_b32 exec_lo, exec_lo, s11
	s_waitcnt vmcnt(0)
	global_load_dwordx2 v[2:3], v[0:1], off offset:16
	s_waitcnt vmcnt(0)
	v_cmp_eq_u64_e32 vcc_lo, 0, v[2:3]
	s_cbranch_vccnz .LBB5_22
; %bb.21:
	global_load_dword v0, v[0:1], off offset:24
	v_mov_b32_e32 v1, 0
	s_waitcnt vmcnt(0)
	v_readfirstlane_b32 s11, v0
	s_waitcnt_vscnt null, 0x0
	global_store_dwordx2 v[2:3], v[0:1], off
	s_and_b32 m0, s11, 0x7fffff
	s_sendmsg sendmsg(MSG_INTERRUPT)
.LBB5_22:
	s_or_b32 exec_lo, exec_lo, s10
	s_branch .LBB5_26
	.p2align	6
.LBB5_23:                               ;   in Loop: Header=BB5_26 Depth=1
	s_or_b32 exec_lo, exec_lo, s10
	v_readfirstlane_b32 s10, v0
	s_cmp_eq_u32 s10, 0
	s_cbranch_scc1 .LBB5_25
; %bb.24:                               ;   in Loop: Header=BB5_26 Depth=1
	s_sleep 1
	s_cbranch_execnz .LBB5_26
	s_branch .LBB5_28
	.p2align	6
.LBB5_25:
	s_branch .LBB5_28
.LBB5_26:                               ; =>This Inner Loop Header: Depth=1
	v_mov_b32_e32 v0, 1
	s_and_saveexec_b32 s10, s1
	s_cbranch_execz .LBB5_23
; %bb.27:                               ;   in Loop: Header=BB5_26 Depth=1
	global_load_dword v0, v[8:9], off offset:20 glc dlc
	s_waitcnt vmcnt(0)
	buffer_gl1_inv
	buffer_gl0_inv
	v_and_b32_e32 v0, 1, v0
	s_branch .LBB5_23
.LBB5_28:
	global_load_dwordx2 v[0:1], v[10:11], off
	s_and_saveexec_b32 s10, s1
	s_cbranch_execz .LBB5_32
; %bb.29:
	v_mov_b32_e32 v8, 0
	s_clause 0x2
	global_load_dwordx2 v[2:3], v8, s[6:7] offset:40
	global_load_dwordx2 v[11:12], v8, s[6:7] offset:24 glc dlc
	global_load_dwordx2 v[4:5], v8, s[6:7]
	s_waitcnt vmcnt(2)
	v_readfirstlane_b32 s12, v2
	v_readfirstlane_b32 s13, v3
	s_add_u32 s1, s12, 1
	s_addc_u32 s11, s13, 0
	s_add_u32 s8, s1, s8
	s_addc_u32 s9, s11, s9
	s_cmp_eq_u64 s[8:9], 0
	s_cselect_b32 s9, s11, s9
	s_cselect_b32 s8, s1, s8
	v_mov_b32_e32 v10, s9
	s_and_b64 s[12:13], s[8:9], s[12:13]
	v_mov_b32_e32 v9, s8
	s_mul_i32 s1, s13, 24
	s_mul_hi_u32 s11, s12, 24
	s_mul_i32 s12, s12, 24
	s_add_i32 s11, s11, s1
	s_waitcnt vmcnt(0)
	v_add_co_u32 v6, vcc_lo, v4, s12
	v_add_co_ci_u32_e64 v7, null, s11, v5, vcc_lo
	global_store_dwordx2 v[6:7], v[11:12], off
	s_waitcnt_vscnt null, 0x0
	global_atomic_cmpswap_x2 v[4:5], v8, v[9:12], s[6:7] offset:24 glc
	s_waitcnt vmcnt(0)
	v_cmp_ne_u64_e32 vcc_lo, v[4:5], v[11:12]
	s_and_b32 exec_lo, exec_lo, vcc_lo
	s_cbranch_execz .LBB5_32
; %bb.30:
	s_mov_b32 s1, 0
.LBB5_31:                               ; =>This Inner Loop Header: Depth=1
	v_mov_b32_e32 v2, s8
	v_mov_b32_e32 v3, s9
	s_sleep 1
	global_store_dwordx2 v[6:7], v[4:5], off
	s_waitcnt_vscnt null, 0x0
	global_atomic_cmpswap_x2 v[2:3], v8, v[2:5], s[6:7] offset:24 glc
	s_waitcnt vmcnt(0)
	v_cmp_eq_u64_e32 vcc_lo, v[2:3], v[4:5]
	v_mov_b32_e32 v5, v3
	v_mov_b32_e32 v4, v2
	s_or_b32 s1, vcc_lo, s1
	s_andn2_b32 exec_lo, exec_lo, s1
	s_cbranch_execnz .LBB5_31
.LBB5_32:
	s_or_b32 exec_lo, exec_lo, s10
	s_getpc_b64 s[8:9]
	s_add_u32 s8, s8, .str.8@rel32@lo+4
	s_addc_u32 s9, s9, .str.8@rel32@hi+12
	s_cmp_lg_u64 s[8:9], 0
	s_cbranch_scc0 .LBB5_111
; %bb.33:
	s_waitcnt vmcnt(0)
	v_and_b32_e32 v33, 2, v0
	v_mov_b32_e32 v7, 0
	v_and_b32_e32 v2, -3, v0
	v_mov_b32_e32 v3, v1
	v_mov_b32_e32 v8, 2
	v_mov_b32_e32 v9, 1
	s_mov_b64 s[10:11], 0x4d
	s_branch .LBB5_35
.LBB5_34:                               ;   in Loop: Header=BB5_35 Depth=1
	s_or_b32 exec_lo, exec_lo, s16
	s_sub_u32 s10, s10, s12
	s_subb_u32 s11, s11, s13
	s_add_u32 s8, s8, s12
	s_addc_u32 s9, s9, s13
	s_cmp_lg_u64 s[10:11], 0
	s_cbranch_scc0 .LBB5_110
.LBB5_35:                               ; =>This Loop Header: Depth=1
                                        ;     Child Loop BB5_38 Depth 2
                                        ;     Child Loop BB5_45 Depth 2
	;; [unrolled: 1-line block ×11, first 2 shown]
	v_cmp_lt_u64_e64 s1, s[10:11], 56
	v_cmp_gt_u64_e64 s16, s[10:11], 7
	s_and_b32 s1, s1, exec_lo
	s_cselect_b32 s13, s11, 0
	s_cselect_b32 s12, s10, 56
	s_add_u32 s14, s8, 8
	s_addc_u32 s15, s9, 0
	s_and_b32 vcc_lo, exec_lo, s16
	s_cbranch_vccnz .LBB5_40
; %bb.36:                               ;   in Loop: Header=BB5_35 Depth=1
	v_mov_b32_e32 v4, 0
	v_mov_b32_e32 v5, 0
	s_cmp_eq_u64 s[10:11], 0
	s_cbranch_scc1 .LBB5_39
; %bb.37:                               ;   in Loop: Header=BB5_35 Depth=1
	s_lshl_b64 s[14:15], s[12:13], 3
	s_mov_b64 s[16:17], 0
	s_mov_b64 s[18:19], s[8:9]
.LBB5_38:                               ;   Parent Loop BB5_35 Depth=1
                                        ; =>  This Inner Loop Header: Depth=2
	global_load_ubyte v6, v7, s[18:19]
	s_waitcnt vmcnt(0)
	v_and_b32_e32 v6, 0xffff, v6
	v_lshlrev_b64 v[10:11], s16, v[6:7]
	s_add_u32 s16, s16, 8
	s_addc_u32 s17, s17, 0
	s_add_u32 s18, s18, 1
	s_addc_u32 s19, s19, 0
	s_cmp_lg_u32 s14, s16
	v_or_b32_e32 v4, v10, v4
	v_or_b32_e32 v5, v11, v5
	s_cbranch_scc1 .LBB5_38
.LBB5_39:                               ;   in Loop: Header=BB5_35 Depth=1
	s_mov_b64 s[14:15], s[8:9]
	s_mov_b32 s1, 0
	s_cbranch_execz .LBB5_41
	s_branch .LBB5_42
.LBB5_40:                               ;   in Loop: Header=BB5_35 Depth=1
	s_mov_b32 s1, 0
.LBB5_41:                               ;   in Loop: Header=BB5_35 Depth=1
	global_load_dwordx2 v[4:5], v7, s[8:9]
	s_add_i32 s1, s12, -8
.LBB5_42:                               ;   in Loop: Header=BB5_35 Depth=1
	s_add_u32 s16, s14, 8
	s_addc_u32 s17, s15, 0
	s_cmp_gt_u32 s1, 7
	s_cbranch_scc1 .LBB5_47
; %bb.43:                               ;   in Loop: Header=BB5_35 Depth=1
	v_mov_b32_e32 v10, 0
	v_mov_b32_e32 v11, 0
	s_cmp_eq_u32 s1, 0
	s_cbranch_scc1 .LBB5_46
; %bb.44:                               ;   in Loop: Header=BB5_35 Depth=1
	s_mov_b64 s[16:17], 0
	s_mov_b64 s[18:19], 0
.LBB5_45:                               ;   Parent Loop BB5_35 Depth=1
                                        ; =>  This Inner Loop Header: Depth=2
	s_add_u32 s24, s14, s18
	s_addc_u32 s25, s15, s19
	s_add_u32 s18, s18, 1
	global_load_ubyte v6, v7, s[24:25]
	s_addc_u32 s19, s19, 0
	s_waitcnt vmcnt(0)
	v_and_b32_e32 v6, 0xffff, v6
	v_lshlrev_b64 v[12:13], s16, v[6:7]
	s_add_u32 s16, s16, 8
	s_addc_u32 s17, s17, 0
	s_cmp_lg_u32 s1, s18
	v_or_b32_e32 v10, v12, v10
	v_or_b32_e32 v11, v13, v11
	s_cbranch_scc1 .LBB5_45
.LBB5_46:                               ;   in Loop: Header=BB5_35 Depth=1
	s_mov_b64 s[16:17], s[14:15]
	s_mov_b32 s24, 0
	s_cbranch_execz .LBB5_48
	s_branch .LBB5_49
.LBB5_47:                               ;   in Loop: Header=BB5_35 Depth=1
                                        ; implicit-def: $vgpr10_vgpr11
	s_mov_b32 s24, 0
.LBB5_48:                               ;   in Loop: Header=BB5_35 Depth=1
	global_load_dwordx2 v[10:11], v7, s[14:15]
	s_add_i32 s24, s1, -8
.LBB5_49:                               ;   in Loop: Header=BB5_35 Depth=1
	s_add_u32 s14, s16, 8
	s_addc_u32 s15, s17, 0
	s_cmp_gt_u32 s24, 7
	s_cbranch_scc1 .LBB5_54
; %bb.50:                               ;   in Loop: Header=BB5_35 Depth=1
	v_mov_b32_e32 v12, 0
	v_mov_b32_e32 v13, 0
	s_cmp_eq_u32 s24, 0
	s_cbranch_scc1 .LBB5_53
; %bb.51:                               ;   in Loop: Header=BB5_35 Depth=1
	s_mov_b64 s[14:15], 0
	s_mov_b64 s[18:19], 0
.LBB5_52:                               ;   Parent Loop BB5_35 Depth=1
                                        ; =>  This Inner Loop Header: Depth=2
	s_add_u32 s26, s16, s18
	s_addc_u32 s27, s17, s19
	s_add_u32 s18, s18, 1
	global_load_ubyte v6, v7, s[26:27]
	s_addc_u32 s19, s19, 0
	s_waitcnt vmcnt(0)
	v_and_b32_e32 v6, 0xffff, v6
	v_lshlrev_b64 v[14:15], s14, v[6:7]
	s_add_u32 s14, s14, 8
	s_addc_u32 s15, s15, 0
	s_cmp_lg_u32 s24, s18
	v_or_b32_e32 v12, v14, v12
	v_or_b32_e32 v13, v15, v13
	s_cbranch_scc1 .LBB5_52
.LBB5_53:                               ;   in Loop: Header=BB5_35 Depth=1
	s_mov_b64 s[14:15], s[16:17]
	s_mov_b32 s1, 0
	s_cbranch_execz .LBB5_55
	s_branch .LBB5_56
.LBB5_54:                               ;   in Loop: Header=BB5_35 Depth=1
	s_mov_b32 s1, 0
.LBB5_55:                               ;   in Loop: Header=BB5_35 Depth=1
	global_load_dwordx2 v[12:13], v7, s[16:17]
	s_add_i32 s1, s24, -8
.LBB5_56:                               ;   in Loop: Header=BB5_35 Depth=1
	s_add_u32 s16, s14, 8
	s_addc_u32 s17, s15, 0
	s_cmp_gt_u32 s1, 7
	s_cbranch_scc1 .LBB5_61
; %bb.57:                               ;   in Loop: Header=BB5_35 Depth=1
	v_mov_b32_e32 v14, 0
	v_mov_b32_e32 v15, 0
	s_cmp_eq_u32 s1, 0
	s_cbranch_scc1 .LBB5_60
; %bb.58:                               ;   in Loop: Header=BB5_35 Depth=1
	s_mov_b64 s[16:17], 0
	s_mov_b64 s[18:19], 0
.LBB5_59:                               ;   Parent Loop BB5_35 Depth=1
                                        ; =>  This Inner Loop Header: Depth=2
	s_add_u32 s24, s14, s18
	s_addc_u32 s25, s15, s19
	s_add_u32 s18, s18, 1
	global_load_ubyte v6, v7, s[24:25]
	s_addc_u32 s19, s19, 0
	s_waitcnt vmcnt(0)
	v_and_b32_e32 v6, 0xffff, v6
	v_lshlrev_b64 v[16:17], s16, v[6:7]
	s_add_u32 s16, s16, 8
	s_addc_u32 s17, s17, 0
	s_cmp_lg_u32 s1, s18
	v_or_b32_e32 v14, v16, v14
	v_or_b32_e32 v15, v17, v15
	s_cbranch_scc1 .LBB5_59
.LBB5_60:                               ;   in Loop: Header=BB5_35 Depth=1
	s_mov_b64 s[16:17], s[14:15]
	s_mov_b32 s24, 0
	s_cbranch_execz .LBB5_62
	s_branch .LBB5_63
.LBB5_61:                               ;   in Loop: Header=BB5_35 Depth=1
                                        ; implicit-def: $vgpr14_vgpr15
	s_mov_b32 s24, 0
.LBB5_62:                               ;   in Loop: Header=BB5_35 Depth=1
	global_load_dwordx2 v[14:15], v7, s[14:15]
	s_add_i32 s24, s1, -8
.LBB5_63:                               ;   in Loop: Header=BB5_35 Depth=1
	s_add_u32 s14, s16, 8
	s_addc_u32 s15, s17, 0
	s_cmp_gt_u32 s24, 7
	s_cbranch_scc1 .LBB5_68
; %bb.64:                               ;   in Loop: Header=BB5_35 Depth=1
	v_mov_b32_e32 v16, 0
	v_mov_b32_e32 v17, 0
	s_cmp_eq_u32 s24, 0
	s_cbranch_scc1 .LBB5_67
; %bb.65:                               ;   in Loop: Header=BB5_35 Depth=1
	s_mov_b64 s[14:15], 0
	s_mov_b64 s[18:19], 0
.LBB5_66:                               ;   Parent Loop BB5_35 Depth=1
                                        ; =>  This Inner Loop Header: Depth=2
	s_add_u32 s26, s16, s18
	s_addc_u32 s27, s17, s19
	s_add_u32 s18, s18, 1
	global_load_ubyte v6, v7, s[26:27]
	s_addc_u32 s19, s19, 0
	s_waitcnt vmcnt(0)
	v_and_b32_e32 v6, 0xffff, v6
	v_lshlrev_b64 v[18:19], s14, v[6:7]
	s_add_u32 s14, s14, 8
	s_addc_u32 s15, s15, 0
	s_cmp_lg_u32 s24, s18
	v_or_b32_e32 v16, v18, v16
	v_or_b32_e32 v17, v19, v17
	s_cbranch_scc1 .LBB5_66
.LBB5_67:                               ;   in Loop: Header=BB5_35 Depth=1
	s_mov_b64 s[14:15], s[16:17]
	s_mov_b32 s1, 0
	s_cbranch_execz .LBB5_69
	s_branch .LBB5_70
.LBB5_68:                               ;   in Loop: Header=BB5_35 Depth=1
	s_mov_b32 s1, 0
.LBB5_69:                               ;   in Loop: Header=BB5_35 Depth=1
	global_load_dwordx2 v[16:17], v7, s[16:17]
	s_add_i32 s1, s24, -8
.LBB5_70:                               ;   in Loop: Header=BB5_35 Depth=1
	s_add_u32 s16, s14, 8
	s_addc_u32 s17, s15, 0
	s_cmp_gt_u32 s1, 7
	s_cbranch_scc1 .LBB5_75
; %bb.71:                               ;   in Loop: Header=BB5_35 Depth=1
	v_mov_b32_e32 v18, 0
	v_mov_b32_e32 v19, 0
	s_cmp_eq_u32 s1, 0
	s_cbranch_scc1 .LBB5_74
; %bb.72:                               ;   in Loop: Header=BB5_35 Depth=1
	s_mov_b64 s[16:17], 0
	s_mov_b64 s[18:19], 0
.LBB5_73:                               ;   Parent Loop BB5_35 Depth=1
                                        ; =>  This Inner Loop Header: Depth=2
	s_add_u32 s24, s14, s18
	s_addc_u32 s25, s15, s19
	s_add_u32 s18, s18, 1
	global_load_ubyte v6, v7, s[24:25]
	s_addc_u32 s19, s19, 0
	s_waitcnt vmcnt(0)
	v_and_b32_e32 v6, 0xffff, v6
	v_lshlrev_b64 v[20:21], s16, v[6:7]
	s_add_u32 s16, s16, 8
	s_addc_u32 s17, s17, 0
	s_cmp_lg_u32 s1, s18
	v_or_b32_e32 v18, v20, v18
	v_or_b32_e32 v19, v21, v19
	s_cbranch_scc1 .LBB5_73
.LBB5_74:                               ;   in Loop: Header=BB5_35 Depth=1
	s_mov_b64 s[16:17], s[14:15]
	s_mov_b32 s24, 0
	s_cbranch_execz .LBB5_76
	s_branch .LBB5_77
.LBB5_75:                               ;   in Loop: Header=BB5_35 Depth=1
                                        ; implicit-def: $vgpr18_vgpr19
	s_mov_b32 s24, 0
.LBB5_76:                               ;   in Loop: Header=BB5_35 Depth=1
	global_load_dwordx2 v[18:19], v7, s[14:15]
	s_add_i32 s24, s1, -8
.LBB5_77:                               ;   in Loop: Header=BB5_35 Depth=1
	s_cmp_gt_u32 s24, 7
	s_cbranch_scc1 .LBB5_82
; %bb.78:                               ;   in Loop: Header=BB5_35 Depth=1
	v_mov_b32_e32 v20, 0
	v_mov_b32_e32 v21, 0
	s_cmp_eq_u32 s24, 0
	s_cbranch_scc1 .LBB5_81
; %bb.79:                               ;   in Loop: Header=BB5_35 Depth=1
	s_mov_b64 s[14:15], 0
	s_mov_b64 s[18:19], s[16:17]
.LBB5_80:                               ;   Parent Loop BB5_35 Depth=1
                                        ; =>  This Inner Loop Header: Depth=2
	global_load_ubyte v6, v7, s[18:19]
	s_add_i32 s24, s24, -1
	s_waitcnt vmcnt(0)
	v_and_b32_e32 v6, 0xffff, v6
	v_lshlrev_b64 v[22:23], s14, v[6:7]
	s_add_u32 s14, s14, 8
	s_addc_u32 s15, s15, 0
	s_add_u32 s18, s18, 1
	s_addc_u32 s19, s19, 0
	s_cmp_lg_u32 s24, 0
	v_or_b32_e32 v20, v22, v20
	v_or_b32_e32 v21, v23, v21
	s_cbranch_scc1 .LBB5_80
.LBB5_81:                               ;   in Loop: Header=BB5_35 Depth=1
	s_cbranch_execz .LBB5_83
	s_branch .LBB5_84
.LBB5_82:                               ;   in Loop: Header=BB5_35 Depth=1
.LBB5_83:                               ;   in Loop: Header=BB5_35 Depth=1
	global_load_dwordx2 v[20:21], v7, s[16:17]
.LBB5_84:                               ;   in Loop: Header=BB5_35 Depth=1
	v_readfirstlane_b32 s1, v31
	v_mov_b32_e32 v27, 0
	v_mov_b32_e32 v28, 0
	v_cmp_eq_u32_e64 s1, s1, v31
	s_and_saveexec_b32 s14, s1
	s_cbranch_execz .LBB5_90
; %bb.85:                               ;   in Loop: Header=BB5_35 Depth=1
	global_load_dwordx2 v[24:25], v7, s[6:7] offset:24 glc dlc
	s_waitcnt vmcnt(0)
	buffer_gl1_inv
	buffer_gl0_inv
	s_clause 0x1
	global_load_dwordx2 v[22:23], v7, s[6:7] offset:40
	global_load_dwordx2 v[27:28], v7, s[6:7]
	s_mov_b32 s15, exec_lo
	s_waitcnt vmcnt(1)
	v_and_b32_e32 v6, v23, v25
	v_and_b32_e32 v22, v22, v24
	v_mul_lo_u32 v6, v6, 24
	v_mul_hi_u32 v23, v22, 24
	v_mul_lo_u32 v22, v22, 24
	v_add_nc_u32_e32 v6, v23, v6
	s_waitcnt vmcnt(0)
	v_add_co_u32 v22, vcc_lo, v27, v22
	v_add_co_ci_u32_e64 v23, null, v28, v6, vcc_lo
	global_load_dwordx2 v[22:23], v[22:23], off glc dlc
	s_waitcnt vmcnt(0)
	global_atomic_cmpswap_x2 v[27:28], v7, v[22:25], s[6:7] offset:24 glc
	s_waitcnt vmcnt(0)
	buffer_gl1_inv
	buffer_gl0_inv
	v_cmpx_ne_u64_e64 v[27:28], v[24:25]
	s_cbranch_execz .LBB5_89
; %bb.86:                               ;   in Loop: Header=BB5_35 Depth=1
	s_mov_b32 s16, 0
	.p2align	6
.LBB5_87:                               ;   Parent Loop BB5_35 Depth=1
                                        ; =>  This Inner Loop Header: Depth=2
	s_sleep 1
	s_clause 0x1
	global_load_dwordx2 v[22:23], v7, s[6:7] offset:40
	global_load_dwordx2 v[34:35], v7, s[6:7]
	v_mov_b32_e32 v24, v27
	v_mov_b32_e32 v25, v28
	s_waitcnt vmcnt(1)
	v_and_b32_e32 v6, v22, v24
	v_and_b32_e32 v22, v23, v25
	s_waitcnt vmcnt(0)
	v_mad_u64_u32 v[27:28], null, v6, 24, v[34:35]
	v_mov_b32_e32 v6, v28
	v_mad_u64_u32 v[22:23], null, v22, 24, v[6:7]
	v_mov_b32_e32 v28, v22
	global_load_dwordx2 v[22:23], v[27:28], off glc dlc
	s_waitcnt vmcnt(0)
	global_atomic_cmpswap_x2 v[27:28], v7, v[22:25], s[6:7] offset:24 glc
	s_waitcnt vmcnt(0)
	buffer_gl1_inv
	buffer_gl0_inv
	v_cmp_eq_u64_e32 vcc_lo, v[27:28], v[24:25]
	s_or_b32 s16, vcc_lo, s16
	s_andn2_b32 exec_lo, exec_lo, s16
	s_cbranch_execnz .LBB5_87
; %bb.88:                               ;   in Loop: Header=BB5_35 Depth=1
	s_or_b32 exec_lo, exec_lo, s16
.LBB5_89:                               ;   in Loop: Header=BB5_35 Depth=1
	s_or_b32 exec_lo, exec_lo, s15
.LBB5_90:                               ;   in Loop: Header=BB5_35 Depth=1
	s_or_b32 exec_lo, exec_lo, s14
	s_clause 0x1
	global_load_dwordx2 v[34:35], v7, s[6:7] offset:40
	global_load_dwordx4 v[22:25], v7, s[6:7]
	v_readfirstlane_b32 s15, v28
	v_readfirstlane_b32 s14, v27
	s_mov_b32 s18, exec_lo
	s_waitcnt vmcnt(1)
	v_readfirstlane_b32 s16, v34
	v_readfirstlane_b32 s17, v35
	s_and_b64 s[16:17], s[16:17], s[14:15]
	s_mul_i32 s19, s17, 24
	s_mul_hi_u32 s24, s16, 24
	s_mul_i32 s25, s16, 24
	s_add_i32 s24, s24, s19
	s_waitcnt vmcnt(0)
	v_add_co_u32 v27, vcc_lo, v22, s25
	v_add_co_ci_u32_e64 v28, null, s24, v23, vcc_lo
	s_and_saveexec_b32 s19, s1
	s_cbranch_execz .LBB5_92
; %bb.91:                               ;   in Loop: Header=BB5_35 Depth=1
	v_mov_b32_e32 v6, s18
	global_store_dwordx4 v[27:28], v[6:9], off offset:8
.LBB5_92:                               ;   in Loop: Header=BB5_35 Depth=1
	s_or_b32 exec_lo, exec_lo, s19
	v_cmp_lt_u64_e64 vcc_lo, s[10:11], 57
	s_lshl_b64 s[16:17], s[16:17], 12
	v_and_b32_e32 v2, 0xffffff1f, v2
	v_cndmask_b32_e32 v6, 0, v33, vcc_lo
	v_add_co_u32 v24, vcc_lo, v24, s16
	v_add_co_ci_u32_e64 v25, null, s17, v25, vcc_lo
	v_or_b32_e32 v2, v2, v6
	s_lshl_b32 s16, s12, 2
	s_add_i32 s18, s16, 28
	v_readfirstlane_b32 s16, v24
	v_readfirstlane_b32 s17, v25
	v_and_or_b32 v2, 0x1e0, s18, v2
	global_store_dwordx4 v30, v[10:13], s[16:17] offset:16
	global_store_dwordx4 v30, v[2:5], s[16:17]
	global_store_dwordx4 v30, v[14:17], s[16:17] offset:32
	global_store_dwordx4 v30, v[18:21], s[16:17] offset:48
	s_and_saveexec_b32 s16, s1
	s_cbranch_execz .LBB5_100
; %bb.93:                               ;   in Loop: Header=BB5_35 Depth=1
	s_clause 0x1
	global_load_dwordx2 v[14:15], v7, s[6:7] offset:32 glc dlc
	global_load_dwordx2 v[2:3], v7, s[6:7] offset:40
	v_mov_b32_e32 v12, s14
	v_mov_b32_e32 v13, s15
	s_waitcnt vmcnt(0)
	v_readfirstlane_b32 s18, v2
	v_readfirstlane_b32 s19, v3
	s_and_b64 s[18:19], s[18:19], s[14:15]
	s_mul_i32 s17, s19, 24
	s_mul_hi_u32 s19, s18, 24
	s_mul_i32 s18, s18, 24
	s_add_i32 s19, s19, s17
	v_add_co_u32 v10, vcc_lo, v22, s18
	v_add_co_ci_u32_e64 v11, null, s19, v23, vcc_lo
	s_mov_b32 s17, exec_lo
	global_store_dwordx2 v[10:11], v[14:15], off
	s_waitcnt_vscnt null, 0x0
	global_atomic_cmpswap_x2 v[4:5], v7, v[12:15], s[6:7] offset:32 glc
	s_waitcnt vmcnt(0)
	v_cmpx_ne_u64_e64 v[4:5], v[14:15]
	s_cbranch_execz .LBB5_96
; %bb.94:                               ;   in Loop: Header=BB5_35 Depth=1
	s_mov_b32 s18, 0
.LBB5_95:                               ;   Parent Loop BB5_35 Depth=1
                                        ; =>  This Inner Loop Header: Depth=2
	v_mov_b32_e32 v2, s14
	v_mov_b32_e32 v3, s15
	s_sleep 1
	global_store_dwordx2 v[10:11], v[4:5], off
	s_waitcnt_vscnt null, 0x0
	global_atomic_cmpswap_x2 v[2:3], v7, v[2:5], s[6:7] offset:32 glc
	s_waitcnt vmcnt(0)
	v_cmp_eq_u64_e32 vcc_lo, v[2:3], v[4:5]
	v_mov_b32_e32 v5, v3
	v_mov_b32_e32 v4, v2
	s_or_b32 s18, vcc_lo, s18
	s_andn2_b32 exec_lo, exec_lo, s18
	s_cbranch_execnz .LBB5_95
.LBB5_96:                               ;   in Loop: Header=BB5_35 Depth=1
	s_or_b32 exec_lo, exec_lo, s17
	global_load_dwordx2 v[2:3], v7, s[6:7] offset:16
	s_mov_b32 s18, exec_lo
	s_mov_b32 s17, exec_lo
	v_mbcnt_lo_u32_b32 v4, s18, 0
	v_cmpx_eq_u32_e32 0, v4
	s_cbranch_execz .LBB5_98
; %bb.97:                               ;   in Loop: Header=BB5_35 Depth=1
	s_bcnt1_i32_b32 s18, s18
	v_mov_b32_e32 v6, s18
	s_waitcnt vmcnt(0)
	global_atomic_add_x2 v[2:3], v[6:7], off offset:8
.LBB5_98:                               ;   in Loop: Header=BB5_35 Depth=1
	s_or_b32 exec_lo, exec_lo, s17
	s_waitcnt vmcnt(0)
	global_load_dwordx2 v[4:5], v[2:3], off offset:16
	s_waitcnt vmcnt(0)
	v_cmp_eq_u64_e32 vcc_lo, 0, v[4:5]
	s_cbranch_vccnz .LBB5_100
; %bb.99:                               ;   in Loop: Header=BB5_35 Depth=1
	global_load_dword v6, v[2:3], off offset:24
	s_waitcnt vmcnt(0)
	v_readfirstlane_b32 s17, v6
	s_waitcnt_vscnt null, 0x0
	global_store_dwordx2 v[4:5], v[6:7], off
	s_and_b32 m0, s17, 0x7fffff
	s_sendmsg sendmsg(MSG_INTERRUPT)
.LBB5_100:                              ;   in Loop: Header=BB5_35 Depth=1
	s_or_b32 exec_lo, exec_lo, s16
	v_add_co_u32 v2, vcc_lo, v24, v30
	v_add_co_ci_u32_e64 v3, null, 0, v25, vcc_lo
	s_branch .LBB5_104
	.p2align	6
.LBB5_101:                              ;   in Loop: Header=BB5_104 Depth=2
	s_or_b32 exec_lo, exec_lo, s16
	v_readfirstlane_b32 s16, v4
	s_cmp_eq_u32 s16, 0
	s_cbranch_scc1 .LBB5_103
; %bb.102:                              ;   in Loop: Header=BB5_104 Depth=2
	s_sleep 1
	s_cbranch_execnz .LBB5_104
	s_branch .LBB5_106
	.p2align	6
.LBB5_103:                              ;   in Loop: Header=BB5_35 Depth=1
	s_branch .LBB5_106
.LBB5_104:                              ;   Parent Loop BB5_35 Depth=1
                                        ; =>  This Inner Loop Header: Depth=2
	v_mov_b32_e32 v4, 1
	s_and_saveexec_b32 s16, s1
	s_cbranch_execz .LBB5_101
; %bb.105:                              ;   in Loop: Header=BB5_104 Depth=2
	global_load_dword v4, v[27:28], off offset:20 glc dlc
	s_waitcnt vmcnt(0)
	buffer_gl1_inv
	buffer_gl0_inv
	v_and_b32_e32 v4, 1, v4
	s_branch .LBB5_101
.LBB5_106:                              ;   in Loop: Header=BB5_35 Depth=1
	global_load_dwordx2 v[2:3], v[2:3], off
	s_and_saveexec_b32 s16, s1
	s_cbranch_execz .LBB5_34
; %bb.107:                              ;   in Loop: Header=BB5_35 Depth=1
	s_clause 0x2
	global_load_dwordx2 v[4:5], v7, s[6:7] offset:40
	global_load_dwordx2 v[14:15], v7, s[6:7] offset:24 glc dlc
	global_load_dwordx2 v[10:11], v7, s[6:7]
	s_waitcnt vmcnt(2)
	v_readfirstlane_b32 s18, v4
	v_readfirstlane_b32 s19, v5
	s_add_u32 s1, s18, 1
	s_addc_u32 s17, s19, 0
	s_add_u32 s14, s1, s14
	s_addc_u32 s15, s17, s15
	s_cmp_eq_u64 s[14:15], 0
	s_cselect_b32 s15, s17, s15
	s_cselect_b32 s14, s1, s14
	v_mov_b32_e32 v13, s15
	s_and_b64 s[18:19], s[14:15], s[18:19]
	v_mov_b32_e32 v12, s14
	s_mul_i32 s1, s19, 24
	s_mul_hi_u32 s17, s18, 24
	s_mul_i32 s18, s18, 24
	s_add_i32 s17, s17, s1
	s_waitcnt vmcnt(0)
	v_add_co_u32 v4, vcc_lo, v10, s18
	v_add_co_ci_u32_e64 v5, null, s17, v11, vcc_lo
	global_store_dwordx2 v[4:5], v[14:15], off
	s_waitcnt_vscnt null, 0x0
	global_atomic_cmpswap_x2 v[12:13], v7, v[12:15], s[6:7] offset:24 glc
	s_waitcnt vmcnt(0)
	v_cmp_ne_u64_e32 vcc_lo, v[12:13], v[14:15]
	s_and_b32 exec_lo, exec_lo, vcc_lo
	s_cbranch_execz .LBB5_34
; %bb.108:                              ;   in Loop: Header=BB5_35 Depth=1
	s_mov_b32 s1, 0
.LBB5_109:                              ;   Parent Loop BB5_35 Depth=1
                                        ; =>  This Inner Loop Header: Depth=2
	v_mov_b32_e32 v10, s14
	v_mov_b32_e32 v11, s15
	s_sleep 1
	global_store_dwordx2 v[4:5], v[12:13], off
	s_waitcnt_vscnt null, 0x0
	global_atomic_cmpswap_x2 v[10:11], v7, v[10:13], s[6:7] offset:24 glc
	s_waitcnt vmcnt(0)
	v_cmp_eq_u64_e32 vcc_lo, v[10:11], v[12:13]
	v_mov_b32_e32 v13, v11
	v_mov_b32_e32 v12, v10
	s_or_b32 s1, vcc_lo, s1
	s_andn2_b32 exec_lo, exec_lo, s1
	s_cbranch_execnz .LBB5_109
	s_branch .LBB5_34
.LBB5_110:
	s_branch .LBB5_139
.LBB5_111:
                                        ; implicit-def: $vgpr2_vgpr3
	s_cbranch_execz .LBB5_139
; %bb.112:
	v_readfirstlane_b32 s1, v31
	v_mov_b32_e32 v8, 0
	v_mov_b32_e32 v9, 0
	v_cmp_eq_u32_e64 s1, s1, v31
	s_and_saveexec_b32 s8, s1
	s_cbranch_execz .LBB5_118
; %bb.113:
	s_waitcnt vmcnt(0)
	v_mov_b32_e32 v2, 0
	s_mov_b32 s9, exec_lo
	global_load_dwordx2 v[5:6], v2, s[6:7] offset:24 glc dlc
	s_waitcnt vmcnt(0)
	buffer_gl1_inv
	buffer_gl0_inv
	s_clause 0x1
	global_load_dwordx2 v[3:4], v2, s[6:7] offset:40
	global_load_dwordx2 v[7:8], v2, s[6:7]
	s_waitcnt vmcnt(1)
	v_and_b32_e32 v4, v4, v6
	v_and_b32_e32 v3, v3, v5
	v_mul_lo_u32 v4, v4, 24
	v_mul_hi_u32 v9, v3, 24
	v_mul_lo_u32 v3, v3, 24
	v_add_nc_u32_e32 v4, v9, v4
	s_waitcnt vmcnt(0)
	v_add_co_u32 v3, vcc_lo, v7, v3
	v_add_co_ci_u32_e64 v4, null, v8, v4, vcc_lo
	global_load_dwordx2 v[3:4], v[3:4], off glc dlc
	s_waitcnt vmcnt(0)
	global_atomic_cmpswap_x2 v[8:9], v2, v[3:6], s[6:7] offset:24 glc
	s_waitcnt vmcnt(0)
	buffer_gl1_inv
	buffer_gl0_inv
	v_cmpx_ne_u64_e64 v[8:9], v[5:6]
	s_cbranch_execz .LBB5_117
; %bb.114:
	s_mov_b32 s10, 0
	.p2align	6
.LBB5_115:                              ; =>This Inner Loop Header: Depth=1
	s_sleep 1
	s_clause 0x1
	global_load_dwordx2 v[3:4], v2, s[6:7] offset:40
	global_load_dwordx2 v[10:11], v2, s[6:7]
	v_mov_b32_e32 v5, v8
	v_mov_b32_e32 v6, v9
	s_waitcnt vmcnt(1)
	v_and_b32_e32 v3, v3, v5
	v_and_b32_e32 v4, v4, v6
	s_waitcnt vmcnt(0)
	v_mad_u64_u32 v[7:8], null, v3, 24, v[10:11]
	v_mov_b32_e32 v3, v8
	v_mad_u64_u32 v[3:4], null, v4, 24, v[3:4]
	v_mov_b32_e32 v8, v3
	global_load_dwordx2 v[3:4], v[7:8], off glc dlc
	s_waitcnt vmcnt(0)
	global_atomic_cmpswap_x2 v[8:9], v2, v[3:6], s[6:7] offset:24 glc
	s_waitcnt vmcnt(0)
	buffer_gl1_inv
	buffer_gl0_inv
	v_cmp_eq_u64_e32 vcc_lo, v[8:9], v[5:6]
	s_or_b32 s10, vcc_lo, s10
	s_andn2_b32 exec_lo, exec_lo, s10
	s_cbranch_execnz .LBB5_115
; %bb.116:
	s_or_b32 exec_lo, exec_lo, s10
.LBB5_117:
	s_or_b32 exec_lo, exec_lo, s9
.LBB5_118:
	s_or_b32 exec_lo, exec_lo, s8
	s_waitcnt vmcnt(0)
	v_mov_b32_e32 v2, 0
	v_readfirstlane_b32 s9, v9
	v_readfirstlane_b32 s8, v8
	s_mov_b32 s12, exec_lo
	s_clause 0x1
	global_load_dwordx2 v[10:11], v2, s[6:7] offset:40
	global_load_dwordx4 v[4:7], v2, s[6:7]
	s_waitcnt vmcnt(1)
	v_readfirstlane_b32 s10, v10
	v_readfirstlane_b32 s11, v11
	s_and_b64 s[10:11], s[10:11], s[8:9]
	s_mul_i32 s13, s11, 24
	s_mul_hi_u32 s14, s10, 24
	s_mul_i32 s15, s10, 24
	s_add_i32 s14, s14, s13
	s_waitcnt vmcnt(0)
	v_add_co_u32 v8, vcc_lo, v4, s15
	v_add_co_ci_u32_e64 v9, null, s14, v5, vcc_lo
	s_and_saveexec_b32 s13, s1
	s_cbranch_execz .LBB5_120
; %bb.119:
	v_mov_b32_e32 v10, s12
	v_mov_b32_e32 v11, v2
	;; [unrolled: 1-line block ×4, first 2 shown]
	global_store_dwordx4 v[8:9], v[10:13], off offset:8
.LBB5_120:
	s_or_b32 exec_lo, exec_lo, s13
	s_lshl_b64 s[10:11], s[10:11], 12
	s_mov_b32 s12, 0
	v_add_co_u32 v6, vcc_lo, v6, s10
	v_add_co_ci_u32_e64 v7, null, s11, v7, vcc_lo
	s_mov_b32 s13, s12
	v_readfirstlane_b32 s10, v6
	v_add_co_u32 v6, vcc_lo, v6, v30
	s_mov_b32 s14, s12
	s_mov_b32 s15, s12
	v_and_or_b32 v0, 0xffffff1f, v0, 32
	v_mov_b32_e32 v3, v2
	v_readfirstlane_b32 s11, v7
	v_mov_b32_e32 v10, s12
	v_add_co_ci_u32_e64 v7, null, 0, v7, vcc_lo
	v_mov_b32_e32 v11, s13
	v_mov_b32_e32 v12, s14
	;; [unrolled: 1-line block ×3, first 2 shown]
	global_store_dwordx4 v30, v[0:3], s[10:11]
	global_store_dwordx4 v30, v[10:13], s[10:11] offset:16
	global_store_dwordx4 v30, v[10:13], s[10:11] offset:32
	;; [unrolled: 1-line block ×3, first 2 shown]
	s_and_saveexec_b32 s10, s1
	s_cbranch_execz .LBB5_128
; %bb.121:
	v_mov_b32_e32 v10, 0
	v_mov_b32_e32 v11, s8
	;; [unrolled: 1-line block ×3, first 2 shown]
	s_clause 0x1
	global_load_dwordx2 v[13:14], v10, s[6:7] offset:32 glc dlc
	global_load_dwordx2 v[0:1], v10, s[6:7] offset:40
	s_waitcnt vmcnt(0)
	v_readfirstlane_b32 s12, v0
	v_readfirstlane_b32 s13, v1
	s_and_b64 s[12:13], s[12:13], s[8:9]
	s_mul_i32 s11, s13, 24
	s_mul_hi_u32 s13, s12, 24
	s_mul_i32 s12, s12, 24
	s_add_i32 s13, s13, s11
	v_add_co_u32 v4, vcc_lo, v4, s12
	v_add_co_ci_u32_e64 v5, null, s13, v5, vcc_lo
	s_mov_b32 s11, exec_lo
	global_store_dwordx2 v[4:5], v[13:14], off
	s_waitcnt_vscnt null, 0x0
	global_atomic_cmpswap_x2 v[2:3], v10, v[11:14], s[6:7] offset:32 glc
	s_waitcnt vmcnt(0)
	v_cmpx_ne_u64_e64 v[2:3], v[13:14]
	s_cbranch_execz .LBB5_124
; %bb.122:
	s_mov_b32 s12, 0
.LBB5_123:                              ; =>This Inner Loop Header: Depth=1
	v_mov_b32_e32 v0, s8
	v_mov_b32_e32 v1, s9
	s_sleep 1
	global_store_dwordx2 v[4:5], v[2:3], off
	s_waitcnt_vscnt null, 0x0
	global_atomic_cmpswap_x2 v[0:1], v10, v[0:3], s[6:7] offset:32 glc
	s_waitcnt vmcnt(0)
	v_cmp_eq_u64_e32 vcc_lo, v[0:1], v[2:3]
	v_mov_b32_e32 v3, v1
	v_mov_b32_e32 v2, v0
	s_or_b32 s12, vcc_lo, s12
	s_andn2_b32 exec_lo, exec_lo, s12
	s_cbranch_execnz .LBB5_123
.LBB5_124:
	s_or_b32 exec_lo, exec_lo, s11
	v_mov_b32_e32 v3, 0
	s_mov_b32 s12, exec_lo
	s_mov_b32 s11, exec_lo
	v_mbcnt_lo_u32_b32 v2, s12, 0
	global_load_dwordx2 v[0:1], v3, s[6:7] offset:16
	v_cmpx_eq_u32_e32 0, v2
	s_cbranch_execz .LBB5_126
; %bb.125:
	s_bcnt1_i32_b32 s12, s12
	v_mov_b32_e32 v2, s12
	s_waitcnt vmcnt(0)
	global_atomic_add_x2 v[0:1], v[2:3], off offset:8
.LBB5_126:
	s_or_b32 exec_lo, exec_lo, s11
	s_waitcnt vmcnt(0)
	global_load_dwordx2 v[2:3], v[0:1], off offset:16
	s_waitcnt vmcnt(0)
	v_cmp_eq_u64_e32 vcc_lo, 0, v[2:3]
	s_cbranch_vccnz .LBB5_128
; %bb.127:
	global_load_dword v0, v[0:1], off offset:24
	v_mov_b32_e32 v1, 0
	s_waitcnt vmcnt(0)
	v_readfirstlane_b32 s11, v0
	s_waitcnt_vscnt null, 0x0
	global_store_dwordx2 v[2:3], v[0:1], off
	s_and_b32 m0, s11, 0x7fffff
	s_sendmsg sendmsg(MSG_INTERRUPT)
.LBB5_128:
	s_or_b32 exec_lo, exec_lo, s10
	s_branch .LBB5_132
	.p2align	6
.LBB5_129:                              ;   in Loop: Header=BB5_132 Depth=1
	s_or_b32 exec_lo, exec_lo, s10
	v_readfirstlane_b32 s10, v0
	s_cmp_eq_u32 s10, 0
	s_cbranch_scc1 .LBB5_131
; %bb.130:                              ;   in Loop: Header=BB5_132 Depth=1
	s_sleep 1
	s_cbranch_execnz .LBB5_132
	s_branch .LBB5_134
	.p2align	6
.LBB5_131:
	s_branch .LBB5_134
.LBB5_132:                              ; =>This Inner Loop Header: Depth=1
	v_mov_b32_e32 v0, 1
	s_and_saveexec_b32 s10, s1
	s_cbranch_execz .LBB5_129
; %bb.133:                              ;   in Loop: Header=BB5_132 Depth=1
	global_load_dword v0, v[8:9], off offset:20 glc dlc
	s_waitcnt vmcnt(0)
	buffer_gl1_inv
	buffer_gl0_inv
	v_and_b32_e32 v0, 1, v0
	s_branch .LBB5_129
.LBB5_134:
	global_load_dwordx2 v[2:3], v[6:7], off
	s_and_saveexec_b32 s10, s1
	s_cbranch_execz .LBB5_138
; %bb.135:
	v_mov_b32_e32 v8, 0
	s_clause 0x2
	global_load_dwordx2 v[0:1], v8, s[6:7] offset:40
	global_load_dwordx2 v[11:12], v8, s[6:7] offset:24 glc dlc
	global_load_dwordx2 v[4:5], v8, s[6:7]
	s_waitcnt vmcnt(2)
	v_readfirstlane_b32 s12, v0
	v_readfirstlane_b32 s13, v1
	s_add_u32 s1, s12, 1
	s_addc_u32 s11, s13, 0
	s_add_u32 s8, s1, s8
	s_addc_u32 s9, s11, s9
	s_cmp_eq_u64 s[8:9], 0
	s_cselect_b32 s9, s11, s9
	s_cselect_b32 s8, s1, s8
	v_mov_b32_e32 v10, s9
	s_and_b64 s[12:13], s[8:9], s[12:13]
	v_mov_b32_e32 v9, s8
	s_mul_i32 s1, s13, 24
	s_mul_hi_u32 s11, s12, 24
	s_mul_i32 s12, s12, 24
	s_add_i32 s11, s11, s1
	s_waitcnt vmcnt(0)
	v_add_co_u32 v0, vcc_lo, v4, s12
	v_add_co_ci_u32_e64 v1, null, s11, v5, vcc_lo
	global_store_dwordx2 v[0:1], v[11:12], off
	s_waitcnt_vscnt null, 0x0
	global_atomic_cmpswap_x2 v[6:7], v8, v[9:12], s[6:7] offset:24 glc
	s_waitcnt vmcnt(0)
	v_cmp_ne_u64_e32 vcc_lo, v[6:7], v[11:12]
	s_and_b32 exec_lo, exec_lo, vcc_lo
	s_cbranch_execz .LBB5_138
; %bb.136:
	s_mov_b32 s1, 0
.LBB5_137:                              ; =>This Inner Loop Header: Depth=1
	v_mov_b32_e32 v4, s8
	v_mov_b32_e32 v5, s9
	s_sleep 1
	global_store_dwordx2 v[0:1], v[6:7], off
	s_waitcnt_vscnt null, 0x0
	global_atomic_cmpswap_x2 v[4:5], v8, v[4:7], s[6:7] offset:24 glc
	s_waitcnt vmcnt(0)
	v_cmp_eq_u64_e32 vcc_lo, v[4:5], v[6:7]
	v_mov_b32_e32 v7, v5
	v_mov_b32_e32 v6, v4
	s_or_b32 s1, vcc_lo, s1
	s_andn2_b32 exec_lo, exec_lo, s1
	s_cbranch_execnz .LBB5_137
.LBB5_138:
	s_or_b32 exec_lo, exec_lo, s10
.LBB5_139:
	v_readfirstlane_b32 s1, v31
	s_waitcnt vmcnt(0)
	v_mov_b32_e32 v0, 0
	v_mov_b32_e32 v1, 0
	v_cmp_eq_u32_e64 s1, s1, v31
	s_and_saveexec_b32 s8, s1
	s_cbranch_execz .LBB5_145
; %bb.140:
	v_mov_b32_e32 v4, 0
	s_mov_b32 s9, exec_lo
	global_load_dwordx2 v[7:8], v4, s[6:7] offset:24 glc dlc
	s_waitcnt vmcnt(0)
	buffer_gl1_inv
	buffer_gl0_inv
	s_clause 0x1
	global_load_dwordx2 v[0:1], v4, s[6:7] offset:40
	global_load_dwordx2 v[5:6], v4, s[6:7]
	s_waitcnt vmcnt(1)
	v_and_b32_e32 v1, v1, v8
	v_and_b32_e32 v0, v0, v7
	v_mul_lo_u32 v1, v1, 24
	v_mul_hi_u32 v9, v0, 24
	v_mul_lo_u32 v0, v0, 24
	v_add_nc_u32_e32 v1, v9, v1
	s_waitcnt vmcnt(0)
	v_add_co_u32 v0, vcc_lo, v5, v0
	v_add_co_ci_u32_e64 v1, null, v6, v1, vcc_lo
	global_load_dwordx2 v[5:6], v[0:1], off glc dlc
	s_waitcnt vmcnt(0)
	global_atomic_cmpswap_x2 v[0:1], v4, v[5:8], s[6:7] offset:24 glc
	s_waitcnt vmcnt(0)
	buffer_gl1_inv
	buffer_gl0_inv
	v_cmpx_ne_u64_e64 v[0:1], v[7:8]
	s_cbranch_execz .LBB5_144
; %bb.141:
	s_mov_b32 s10, 0
	.p2align	6
.LBB5_142:                              ; =>This Inner Loop Header: Depth=1
	s_sleep 1
	s_clause 0x1
	global_load_dwordx2 v[5:6], v4, s[6:7] offset:40
	global_load_dwordx2 v[9:10], v4, s[6:7]
	v_mov_b32_e32 v8, v1
	v_mov_b32_e32 v7, v0
	s_waitcnt vmcnt(1)
	v_and_b32_e32 v0, v5, v7
	v_and_b32_e32 v5, v6, v8
	s_waitcnt vmcnt(0)
	v_mad_u64_u32 v[0:1], null, v0, 24, v[9:10]
	v_mad_u64_u32 v[5:6], null, v5, 24, v[1:2]
	v_mov_b32_e32 v1, v5
	global_load_dwordx2 v[5:6], v[0:1], off glc dlc
	s_waitcnt vmcnt(0)
	global_atomic_cmpswap_x2 v[0:1], v4, v[5:8], s[6:7] offset:24 glc
	s_waitcnt vmcnt(0)
	buffer_gl1_inv
	buffer_gl0_inv
	v_cmp_eq_u64_e32 vcc_lo, v[0:1], v[7:8]
	s_or_b32 s10, vcc_lo, s10
	s_andn2_b32 exec_lo, exec_lo, s10
	s_cbranch_execnz .LBB5_142
; %bb.143:
	s_or_b32 exec_lo, exec_lo, s10
.LBB5_144:
	s_or_b32 exec_lo, exec_lo, s9
.LBB5_145:
	s_or_b32 exec_lo, exec_lo, s8
	v_mov_b32_e32 v5, 0
	v_readfirstlane_b32 s9, v1
	v_readfirstlane_b32 s8, v0
	s_mov_b32 s12, exec_lo
	s_clause 0x1
	global_load_dwordx2 v[10:11], v5, s[6:7] offset:40
	global_load_dwordx4 v[6:9], v5, s[6:7]
	s_waitcnt vmcnt(1)
	v_readfirstlane_b32 s10, v10
	v_readfirstlane_b32 s11, v11
	s_and_b64 s[10:11], s[10:11], s[8:9]
	s_mul_i32 s13, s11, 24
	s_mul_hi_u32 s14, s10, 24
	s_mul_i32 s15, s10, 24
	s_add_i32 s14, s14, s13
	s_waitcnt vmcnt(0)
	v_add_co_u32 v10, vcc_lo, v6, s15
	v_add_co_ci_u32_e64 v11, null, s14, v7, vcc_lo
	s_and_saveexec_b32 s13, s1
	s_cbranch_execz .LBB5_147
; %bb.146:
	v_mov_b32_e32 v4, s12
	v_mov_b32_e32 v13, v5
	;; [unrolled: 1-line block ×5, first 2 shown]
	global_store_dwordx4 v[10:11], v[12:15], off offset:8
.LBB5_147:
	s_or_b32 exec_lo, exec_lo, s13
	s_lshl_b64 s[10:11], s[10:11], 12
	s_mov_b32 s16, 0
	v_add_co_u32 v0, vcc_lo, v8, s10
	v_add_co_ci_u32_e64 v1, null, s11, v9, vcc_lo
	s_add_i32 s12, s20, -1
	v_add_co_u32 v8, vcc_lo, v0, v30
	s_mov_b32 s17, s16
	s_mov_b32 s18, s16
	;; [unrolled: 1-line block ×3, first 2 shown]
	v_and_or_b32 v2, 0xffffff1f, v2, 32
	v_mov_b32_e32 v4, s12
	v_readfirstlane_b32 s10, v0
	v_readfirstlane_b32 s11, v1
	v_mov_b32_e32 v12, s16
	v_add_co_ci_u32_e64 v9, null, 0, v1, vcc_lo
	v_mov_b32_e32 v13, s17
	v_mov_b32_e32 v14, s18
	;; [unrolled: 1-line block ×3, first 2 shown]
	global_store_dwordx4 v30, v[2:5], s[10:11]
	global_store_dwordx4 v30, v[12:15], s[10:11] offset:16
	global_store_dwordx4 v30, v[12:15], s[10:11] offset:32
	;; [unrolled: 1-line block ×3, first 2 shown]
	s_and_saveexec_b32 s10, s1
	s_cbranch_execz .LBB5_155
; %bb.148:
	v_mov_b32_e32 v12, 0
	v_mov_b32_e32 v13, s8
	;; [unrolled: 1-line block ×3, first 2 shown]
	s_clause 0x1
	global_load_dwordx2 v[15:16], v12, s[6:7] offset:32 glc dlc
	global_load_dwordx2 v[0:1], v12, s[6:7] offset:40
	s_waitcnt vmcnt(0)
	v_readfirstlane_b32 s14, v0
	v_readfirstlane_b32 s15, v1
	s_and_b64 s[14:15], s[14:15], s[8:9]
	s_mul_i32 s11, s15, 24
	s_mul_hi_u32 s13, s14, 24
	s_mul_i32 s14, s14, 24
	s_add_i32 s13, s13, s11
	v_add_co_u32 v4, vcc_lo, v6, s14
	v_add_co_ci_u32_e64 v5, null, s13, v7, vcc_lo
	s_mov_b32 s11, exec_lo
	global_store_dwordx2 v[4:5], v[15:16], off
	s_waitcnt_vscnt null, 0x0
	global_atomic_cmpswap_x2 v[2:3], v12, v[13:16], s[6:7] offset:32 glc
	s_waitcnt vmcnt(0)
	v_cmpx_ne_u64_e64 v[2:3], v[15:16]
	s_cbranch_execz .LBB5_151
; %bb.149:
	s_mov_b32 s13, 0
.LBB5_150:                              ; =>This Inner Loop Header: Depth=1
	v_mov_b32_e32 v0, s8
	v_mov_b32_e32 v1, s9
	s_sleep 1
	global_store_dwordx2 v[4:5], v[2:3], off
	s_waitcnt_vscnt null, 0x0
	global_atomic_cmpswap_x2 v[0:1], v12, v[0:3], s[6:7] offset:32 glc
	s_waitcnt vmcnt(0)
	v_cmp_eq_u64_e32 vcc_lo, v[0:1], v[2:3]
	v_mov_b32_e32 v3, v1
	v_mov_b32_e32 v2, v0
	s_or_b32 s13, vcc_lo, s13
	s_andn2_b32 exec_lo, exec_lo, s13
	s_cbranch_execnz .LBB5_150
.LBB5_151:
	s_or_b32 exec_lo, exec_lo, s11
	v_mov_b32_e32 v3, 0
	s_mov_b32 s13, exec_lo
	s_mov_b32 s11, exec_lo
	v_mbcnt_lo_u32_b32 v2, s13, 0
	global_load_dwordx2 v[0:1], v3, s[6:7] offset:16
	v_cmpx_eq_u32_e32 0, v2
	s_cbranch_execz .LBB5_153
; %bb.152:
	s_bcnt1_i32_b32 s13, s13
	v_mov_b32_e32 v2, s13
	s_waitcnt vmcnt(0)
	global_atomic_add_x2 v[0:1], v[2:3], off offset:8
.LBB5_153:
	s_or_b32 exec_lo, exec_lo, s11
	s_waitcnt vmcnt(0)
	global_load_dwordx2 v[2:3], v[0:1], off offset:16
	s_waitcnt vmcnt(0)
	v_cmp_eq_u64_e32 vcc_lo, 0, v[2:3]
	s_cbranch_vccnz .LBB5_155
; %bb.154:
	global_load_dword v0, v[0:1], off offset:24
	v_mov_b32_e32 v1, 0
	s_waitcnt vmcnt(0)
	v_readfirstlane_b32 s11, v0
	s_waitcnt_vscnt null, 0x0
	global_store_dwordx2 v[2:3], v[0:1], off
	s_and_b32 m0, s11, 0x7fffff
	s_sendmsg sendmsg(MSG_INTERRUPT)
.LBB5_155:
	s_or_b32 exec_lo, exec_lo, s10
	s_branch .LBB5_159
	.p2align	6
.LBB5_156:                              ;   in Loop: Header=BB5_159 Depth=1
	s_or_b32 exec_lo, exec_lo, s10
	v_readfirstlane_b32 s10, v0
	s_cmp_eq_u32 s10, 0
	s_cbranch_scc1 .LBB5_158
; %bb.157:                              ;   in Loop: Header=BB5_159 Depth=1
	s_sleep 1
	s_cbranch_execnz .LBB5_159
	s_branch .LBB5_161
	.p2align	6
.LBB5_158:
	s_branch .LBB5_161
.LBB5_159:                              ; =>This Inner Loop Header: Depth=1
	v_mov_b32_e32 v0, 1
	s_and_saveexec_b32 s10, s1
	s_cbranch_execz .LBB5_156
; %bb.160:                              ;   in Loop: Header=BB5_159 Depth=1
	global_load_dword v0, v[10:11], off offset:20 glc dlc
	s_waitcnt vmcnt(0)
	buffer_gl1_inv
	buffer_gl0_inv
	v_and_b32_e32 v0, 1, v0
	s_branch .LBB5_156
.LBB5_161:
	global_load_dwordx2 v[0:1], v[8:9], off
	s_and_saveexec_b32 s10, s1
	s_cbranch_execz .LBB5_165
; %bb.162:
	v_mov_b32_e32 v8, 0
	s_clause 0x2
	global_load_dwordx2 v[2:3], v8, s[6:7] offset:40
	global_load_dwordx2 v[11:12], v8, s[6:7] offset:24 glc dlc
	global_load_dwordx2 v[4:5], v8, s[6:7]
	s_waitcnt vmcnt(2)
	v_readfirstlane_b32 s14, v2
	v_readfirstlane_b32 s15, v3
	s_add_u32 s1, s14, 1
	s_addc_u32 s11, s15, 0
	s_add_u32 s8, s1, s8
	s_addc_u32 s9, s11, s9
	s_cmp_eq_u64 s[8:9], 0
	s_cselect_b32 s9, s11, s9
	s_cselect_b32 s8, s1, s8
	v_mov_b32_e32 v10, s9
	s_and_b64 s[14:15], s[8:9], s[14:15]
	v_mov_b32_e32 v9, s8
	s_mul_i32 s1, s15, 24
	s_mul_hi_u32 s11, s14, 24
	s_mul_i32 s13, s14, 24
	s_add_i32 s11, s11, s1
	s_waitcnt vmcnt(0)
	v_add_co_u32 v6, vcc_lo, v4, s13
	v_add_co_ci_u32_e64 v7, null, s11, v5, vcc_lo
	global_store_dwordx2 v[6:7], v[11:12], off
	s_waitcnt_vscnt null, 0x0
	global_atomic_cmpswap_x2 v[4:5], v8, v[9:12], s[6:7] offset:24 glc
	s_waitcnt vmcnt(0)
	v_cmp_ne_u64_e32 vcc_lo, v[4:5], v[11:12]
	s_and_b32 exec_lo, exec_lo, vcc_lo
	s_cbranch_execz .LBB5_165
; %bb.163:
	s_mov_b32 s1, 0
.LBB5_164:                              ; =>This Inner Loop Header: Depth=1
	v_mov_b32_e32 v2, s8
	v_mov_b32_e32 v3, s9
	s_sleep 1
	global_store_dwordx2 v[6:7], v[4:5], off
	s_waitcnt_vscnt null, 0x0
	global_atomic_cmpswap_x2 v[2:3], v8, v[2:5], s[6:7] offset:24 glc
	s_waitcnt vmcnt(0)
	v_cmp_eq_u64_e32 vcc_lo, v[2:3], v[4:5]
	v_mov_b32_e32 v5, v3
	v_mov_b32_e32 v4, v2
	s_or_b32 s1, vcc_lo, s1
	s_andn2_b32 exec_lo, exec_lo, s1
	s_cbranch_execnz .LBB5_164
.LBB5_165:
	s_or_b32 exec_lo, exec_lo, s10
	v_readfirstlane_b32 s1, v31
	v_mov_b32_e32 v8, 0
	v_mov_b32_e32 v9, 0
	v_cmp_eq_u32_e64 s1, s1, v31
	s_and_saveexec_b32 s8, s1
	s_cbranch_execz .LBB5_171
; %bb.166:
	v_mov_b32_e32 v2, 0
	s_mov_b32 s9, exec_lo
	global_load_dwordx2 v[5:6], v2, s[6:7] offset:24 glc dlc
	s_waitcnt vmcnt(0)
	buffer_gl1_inv
	buffer_gl0_inv
	s_clause 0x1
	global_load_dwordx2 v[3:4], v2, s[6:7] offset:40
	global_load_dwordx2 v[7:8], v2, s[6:7]
	s_waitcnt vmcnt(1)
	v_and_b32_e32 v4, v4, v6
	v_and_b32_e32 v3, v3, v5
	v_mul_lo_u32 v4, v4, 24
	v_mul_hi_u32 v9, v3, 24
	v_mul_lo_u32 v3, v3, 24
	v_add_nc_u32_e32 v4, v9, v4
	s_waitcnt vmcnt(0)
	v_add_co_u32 v3, vcc_lo, v7, v3
	v_add_co_ci_u32_e64 v4, null, v8, v4, vcc_lo
	global_load_dwordx2 v[3:4], v[3:4], off glc dlc
	s_waitcnt vmcnt(0)
	global_atomic_cmpswap_x2 v[8:9], v2, v[3:6], s[6:7] offset:24 glc
	s_waitcnt vmcnt(0)
	buffer_gl1_inv
	buffer_gl0_inv
	v_cmpx_ne_u64_e64 v[8:9], v[5:6]
	s_cbranch_execz .LBB5_170
; %bb.167:
	s_mov_b32 s10, 0
	.p2align	6
.LBB5_168:                              ; =>This Inner Loop Header: Depth=1
	s_sleep 1
	s_clause 0x1
	global_load_dwordx2 v[3:4], v2, s[6:7] offset:40
	global_load_dwordx2 v[10:11], v2, s[6:7]
	v_mov_b32_e32 v5, v8
	v_mov_b32_e32 v6, v9
	s_waitcnt vmcnt(1)
	v_and_b32_e32 v3, v3, v5
	v_and_b32_e32 v4, v4, v6
	s_waitcnt vmcnt(0)
	v_mad_u64_u32 v[7:8], null, v3, 24, v[10:11]
	v_mov_b32_e32 v3, v8
	v_mad_u64_u32 v[3:4], null, v4, 24, v[3:4]
	v_mov_b32_e32 v8, v3
	global_load_dwordx2 v[3:4], v[7:8], off glc dlc
	s_waitcnt vmcnt(0)
	global_atomic_cmpswap_x2 v[8:9], v2, v[3:6], s[6:7] offset:24 glc
	s_waitcnt vmcnt(0)
	buffer_gl1_inv
	buffer_gl0_inv
	v_cmp_eq_u64_e32 vcc_lo, v[8:9], v[5:6]
	s_or_b32 s10, vcc_lo, s10
	s_andn2_b32 exec_lo, exec_lo, s10
	s_cbranch_execnz .LBB5_168
; %bb.169:
	s_or_b32 exec_lo, exec_lo, s10
.LBB5_170:
	s_or_b32 exec_lo, exec_lo, s9
.LBB5_171:
	s_or_b32 exec_lo, exec_lo, s8
	v_mov_b32_e32 v3, 0
	v_readfirstlane_b32 s9, v9
	v_readfirstlane_b32 s8, v8
	s_mov_b32 s13, exec_lo
	s_clause 0x1
	global_load_dwordx2 v[10:11], v3, s[6:7] offset:40
	global_load_dwordx4 v[4:7], v3, s[6:7]
	s_waitcnt vmcnt(1)
	v_readfirstlane_b32 s10, v10
	v_readfirstlane_b32 s11, v11
	s_and_b64 s[10:11], s[10:11], s[8:9]
	s_mul_i32 s14, s11, 24
	s_mul_hi_u32 s15, s10, 24
	s_mul_i32 s16, s10, 24
	s_add_i32 s15, s15, s14
	s_waitcnt vmcnt(0)
	v_add_co_u32 v8, vcc_lo, v4, s16
	v_add_co_ci_u32_e64 v9, null, s15, v5, vcc_lo
	s_and_saveexec_b32 s14, s1
	s_cbranch_execz .LBB5_173
; %bb.172:
	v_mov_b32_e32 v2, s13
	v_mov_b32_e32 v11, v3
	;; [unrolled: 1-line block ×5, first 2 shown]
	global_store_dwordx4 v[8:9], v[10:13], off offset:8
.LBB5_173:
	s_or_b32 exec_lo, exec_lo, s14
	s_lshl_b64 s[10:11], s[10:11], 12
	s_mov_b32 s16, 0
	v_add_co_u32 v6, vcc_lo, v6, s10
	v_add_co_ci_u32_e64 v7, null, s11, v7, vcc_lo
	s_mov_b32 s17, s16
	v_readfirstlane_b32 s10, v6
	v_add_co_u32 v6, vcc_lo, v6, v30
	s_mov_b32 s18, s16
	s_mov_b32 s19, s16
	v_cndmask_b32_e64 v2, -1, v32, s0
	v_and_or_b32 v0, 0xffffff1f, v0, 32
	v_readfirstlane_b32 s11, v7
	v_mov_b32_e32 v10, s16
	v_add_co_ci_u32_e64 v7, null, 0, v7, vcc_lo
	v_mov_b32_e32 v11, s17
	v_mov_b32_e32 v12, s18
	;; [unrolled: 1-line block ×3, first 2 shown]
	global_store_dwordx4 v30, v[0:3], s[10:11]
	global_store_dwordx4 v30, v[10:13], s[10:11] offset:16
	global_store_dwordx4 v30, v[10:13], s[10:11] offset:32
	;; [unrolled: 1-line block ×3, first 2 shown]
	s_and_saveexec_b32 s0, s1
	s_cbranch_execz .LBB5_181
; %bb.174:
	v_mov_b32_e32 v10, 0
	v_mov_b32_e32 v11, s8
	v_mov_b32_e32 v12, s9
	s_clause 0x1
	global_load_dwordx2 v[13:14], v10, s[6:7] offset:32 glc dlc
	global_load_dwordx2 v[0:1], v10, s[6:7] offset:40
	s_waitcnt vmcnt(0)
	v_readfirstlane_b32 s10, v0
	v_readfirstlane_b32 s11, v1
	s_and_b64 s[10:11], s[10:11], s[8:9]
	s_mul_i32 s11, s11, 24
	s_mul_hi_u32 s13, s10, 24
	s_mul_i32 s10, s10, 24
	s_add_i32 s13, s13, s11
	v_add_co_u32 v4, vcc_lo, v4, s10
	v_add_co_ci_u32_e64 v5, null, s13, v5, vcc_lo
	s_mov_b32 s10, exec_lo
	global_store_dwordx2 v[4:5], v[13:14], off
	s_waitcnt_vscnt null, 0x0
	global_atomic_cmpswap_x2 v[2:3], v10, v[11:14], s[6:7] offset:32 glc
	s_waitcnt vmcnt(0)
	v_cmpx_ne_u64_e64 v[2:3], v[13:14]
	s_cbranch_execz .LBB5_177
; %bb.175:
	s_mov_b32 s11, 0
.LBB5_176:                              ; =>This Inner Loop Header: Depth=1
	v_mov_b32_e32 v0, s8
	v_mov_b32_e32 v1, s9
	s_sleep 1
	global_store_dwordx2 v[4:5], v[2:3], off
	s_waitcnt_vscnt null, 0x0
	global_atomic_cmpswap_x2 v[0:1], v10, v[0:3], s[6:7] offset:32 glc
	s_waitcnt vmcnt(0)
	v_cmp_eq_u64_e32 vcc_lo, v[0:1], v[2:3]
	v_mov_b32_e32 v3, v1
	v_mov_b32_e32 v2, v0
	s_or_b32 s11, vcc_lo, s11
	s_andn2_b32 exec_lo, exec_lo, s11
	s_cbranch_execnz .LBB5_176
.LBB5_177:
	s_or_b32 exec_lo, exec_lo, s10
	v_mov_b32_e32 v3, 0
	s_mov_b32 s11, exec_lo
	s_mov_b32 s10, exec_lo
	v_mbcnt_lo_u32_b32 v2, s11, 0
	global_load_dwordx2 v[0:1], v3, s[6:7] offset:16
	v_cmpx_eq_u32_e32 0, v2
	s_cbranch_execz .LBB5_179
; %bb.178:
	s_bcnt1_i32_b32 s11, s11
	v_mov_b32_e32 v2, s11
	s_waitcnt vmcnt(0)
	global_atomic_add_x2 v[0:1], v[2:3], off offset:8
.LBB5_179:
	s_or_b32 exec_lo, exec_lo, s10
	s_waitcnt vmcnt(0)
	global_load_dwordx2 v[2:3], v[0:1], off offset:16
	s_waitcnt vmcnt(0)
	v_cmp_eq_u64_e32 vcc_lo, 0, v[2:3]
	s_cbranch_vccnz .LBB5_181
; %bb.180:
	global_load_dword v0, v[0:1], off offset:24
	v_mov_b32_e32 v1, 0
	s_waitcnt vmcnt(0)
	v_readfirstlane_b32 s10, v0
	s_waitcnt_vscnt null, 0x0
	global_store_dwordx2 v[2:3], v[0:1], off
	s_and_b32 m0, s10, 0x7fffff
	s_sendmsg sendmsg(MSG_INTERRUPT)
.LBB5_181:
	s_or_b32 exec_lo, exec_lo, s0
	s_branch .LBB5_185
	.p2align	6
.LBB5_182:                              ;   in Loop: Header=BB5_185 Depth=1
	s_or_b32 exec_lo, exec_lo, s0
	v_readfirstlane_b32 s0, v0
	s_cmp_eq_u32 s0, 0
	s_cbranch_scc1 .LBB5_184
; %bb.183:                              ;   in Loop: Header=BB5_185 Depth=1
	s_sleep 1
	s_cbranch_execnz .LBB5_185
	s_branch .LBB5_187
	.p2align	6
.LBB5_184:
	s_branch .LBB5_187
.LBB5_185:                              ; =>This Inner Loop Header: Depth=1
	v_mov_b32_e32 v0, 1
	s_and_saveexec_b32 s0, s1
	s_cbranch_execz .LBB5_182
; %bb.186:                              ;   in Loop: Header=BB5_185 Depth=1
	global_load_dword v0, v[8:9], off offset:20 glc dlc
	s_waitcnt vmcnt(0)
	buffer_gl1_inv
	buffer_gl0_inv
	v_and_b32_e32 v0, 1, v0
	s_branch .LBB5_182
.LBB5_187:
	global_load_dwordx2 v[0:1], v[6:7], off
	s_and_saveexec_b32 s10, s1
	s_cbranch_execz .LBB5_191
; %bb.188:
	v_mov_b32_e32 v8, 0
	s_clause 0x2
	global_load_dwordx2 v[2:3], v8, s[6:7] offset:40
	global_load_dwordx2 v[11:12], v8, s[6:7] offset:24 glc dlc
	global_load_dwordx2 v[4:5], v8, s[6:7]
	s_waitcnt vmcnt(2)
	v_readfirstlane_b32 s14, v2
	v_readfirstlane_b32 s15, v3
	s_add_u32 s11, s14, 1
	s_addc_u32 s13, s15, 0
	s_add_u32 s0, s11, s8
	s_addc_u32 s1, s13, s9
	s_cmp_eq_u64 s[0:1], 0
	s_cselect_b32 s1, s13, s1
	s_cselect_b32 s0, s11, s0
	v_mov_b32_e32 v10, s1
	s_and_b64 s[8:9], s[0:1], s[14:15]
	v_mov_b32_e32 v9, s0
	s_mul_i32 s9, s9, 24
	s_mul_hi_u32 s11, s8, 24
	s_mul_i32 s8, s8, 24
	s_add_i32 s11, s11, s9
	s_waitcnt vmcnt(0)
	v_add_co_u32 v6, vcc_lo, v4, s8
	v_add_co_ci_u32_e64 v7, null, s11, v5, vcc_lo
	global_store_dwordx2 v[6:7], v[11:12], off
	s_waitcnt_vscnt null, 0x0
	global_atomic_cmpswap_x2 v[4:5], v8, v[9:12], s[6:7] offset:24 glc
	s_waitcnt vmcnt(0)
	v_cmp_ne_u64_e32 vcc_lo, v[4:5], v[11:12]
	s_and_b32 exec_lo, exec_lo, vcc_lo
	s_cbranch_execz .LBB5_191
; %bb.189:
	s_mov_b32 s8, 0
.LBB5_190:                              ; =>This Inner Loop Header: Depth=1
	v_mov_b32_e32 v2, s0
	v_mov_b32_e32 v3, s1
	s_sleep 1
	global_store_dwordx2 v[6:7], v[4:5], off
	s_waitcnt_vscnt null, 0x0
	global_atomic_cmpswap_x2 v[2:3], v8, v[2:5], s[6:7] offset:24 glc
	s_waitcnt vmcnt(0)
	v_cmp_eq_u64_e32 vcc_lo, v[2:3], v[4:5]
	v_mov_b32_e32 v5, v3
	v_mov_b32_e32 v4, v2
	s_or_b32 s8, vcc_lo, s8
	s_andn2_b32 exec_lo, exec_lo, s8
	s_cbranch_execnz .LBB5_190
.LBB5_191:
	s_or_b32 exec_lo, exec_lo, s10
	v_readfirstlane_b32 s0, v31
	v_mov_b32_e32 v8, 0
	v_mov_b32_e32 v9, 0
	v_cmp_eq_u32_e64 s0, s0, v31
	s_and_saveexec_b32 s1, s0
	s_cbranch_execz .LBB5_197
; %bb.192:
	v_mov_b32_e32 v2, 0
	s_mov_b32 s8, exec_lo
	global_load_dwordx2 v[5:6], v2, s[6:7] offset:24 glc dlc
	s_waitcnt vmcnt(0)
	buffer_gl1_inv
	buffer_gl0_inv
	s_clause 0x1
	global_load_dwordx2 v[3:4], v2, s[6:7] offset:40
	global_load_dwordx2 v[7:8], v2, s[6:7]
	s_waitcnt vmcnt(1)
	v_and_b32_e32 v4, v4, v6
	v_and_b32_e32 v3, v3, v5
	v_mul_lo_u32 v4, v4, 24
	v_mul_hi_u32 v9, v3, 24
	v_mul_lo_u32 v3, v3, 24
	v_add_nc_u32_e32 v4, v9, v4
	s_waitcnt vmcnt(0)
	v_add_co_u32 v3, vcc_lo, v7, v3
	v_add_co_ci_u32_e64 v4, null, v8, v4, vcc_lo
	global_load_dwordx2 v[3:4], v[3:4], off glc dlc
	s_waitcnt vmcnt(0)
	global_atomic_cmpswap_x2 v[8:9], v2, v[3:6], s[6:7] offset:24 glc
	s_waitcnt vmcnt(0)
	buffer_gl1_inv
	buffer_gl0_inv
	v_cmpx_ne_u64_e64 v[8:9], v[5:6]
	s_cbranch_execz .LBB5_196
; %bb.193:
	s_mov_b32 s9, 0
	.p2align	6
.LBB5_194:                              ; =>This Inner Loop Header: Depth=1
	s_sleep 1
	s_clause 0x1
	global_load_dwordx2 v[3:4], v2, s[6:7] offset:40
	global_load_dwordx2 v[10:11], v2, s[6:7]
	v_mov_b32_e32 v5, v8
	v_mov_b32_e32 v6, v9
	s_waitcnt vmcnt(1)
	v_and_b32_e32 v3, v3, v5
	v_and_b32_e32 v4, v4, v6
	s_waitcnt vmcnt(0)
	v_mad_u64_u32 v[7:8], null, v3, 24, v[10:11]
	v_mov_b32_e32 v3, v8
	v_mad_u64_u32 v[3:4], null, v4, 24, v[3:4]
	v_mov_b32_e32 v8, v3
	global_load_dwordx2 v[3:4], v[7:8], off glc dlc
	s_waitcnt vmcnt(0)
	global_atomic_cmpswap_x2 v[8:9], v2, v[3:6], s[6:7] offset:24 glc
	s_waitcnt vmcnt(0)
	buffer_gl1_inv
	buffer_gl0_inv
	v_cmp_eq_u64_e32 vcc_lo, v[8:9], v[5:6]
	s_or_b32 s9, vcc_lo, s9
	s_andn2_b32 exec_lo, exec_lo, s9
	s_cbranch_execnz .LBB5_194
; %bb.195:
	s_or_b32 exec_lo, exec_lo, s9
.LBB5_196:
	s_or_b32 exec_lo, exec_lo, s8
.LBB5_197:
	s_or_b32 exec_lo, exec_lo, s1
	v_mov_b32_e32 v3, 0
	v_readfirstlane_b32 s9, v9
	v_readfirstlane_b32 s8, v8
	s_mov_b32 s1, exec_lo
	s_clause 0x1
	global_load_dwordx2 v[10:11], v3, s[6:7] offset:40
	global_load_dwordx4 v[4:7], v3, s[6:7]
	s_waitcnt vmcnt(1)
	v_readfirstlane_b32 s10, v10
	v_readfirstlane_b32 s11, v11
	s_and_b64 s[10:11], s[10:11], s[8:9]
	s_mul_i32 s13, s11, 24
	s_mul_hi_u32 s14, s10, 24
	s_mul_i32 s15, s10, 24
	s_add_i32 s14, s14, s13
	s_waitcnt vmcnt(0)
	v_add_co_u32 v8, vcc_lo, v4, s15
	v_add_co_ci_u32_e64 v9, null, s14, v5, vcc_lo
	s_and_saveexec_b32 s13, s0
	s_cbranch_execz .LBB5_199
; %bb.198:
	v_mov_b32_e32 v2, s1
	v_mov_b32_e32 v11, v3
	;; [unrolled: 1-line block ×5, first 2 shown]
	global_store_dwordx4 v[8:9], v[10:13], off offset:8
.LBB5_199:
	s_or_b32 exec_lo, exec_lo, s13
	s_lshl_b64 s[10:11], s[10:11], 12
	s_mul_i32 s12, s12, s20
	v_add_co_u32 v6, vcc_lo, v6, s10
	v_add_co_ci_u32_e64 v7, null, s11, v7, vcc_lo
	s_lshr_b32 s1, s12, 1
	s_mov_b32 s12, 0
	v_and_or_b32 v0, 0xffffff1d, v0, 34
	s_mov_b32 s13, s12
	s_mov_b32 s14, s12
	;; [unrolled: 1-line block ×3, first 2 shown]
	v_mov_b32_e32 v2, s1
	v_readfirstlane_b32 s10, v6
	v_readfirstlane_b32 s11, v7
	v_mov_b32_e32 v10, s12
	v_mov_b32_e32 v11, s13
	;; [unrolled: 1-line block ×4, first 2 shown]
	global_store_dwordx4 v30, v[0:3], s[10:11]
	global_store_dwordx4 v30, v[10:13], s[10:11] offset:16
	global_store_dwordx4 v30, v[10:13], s[10:11] offset:32
	;; [unrolled: 1-line block ×3, first 2 shown]
	s_and_saveexec_b32 s1, s0
	s_cbranch_execz .LBB5_207
; %bb.200:
	v_mov_b32_e32 v6, 0
	v_mov_b32_e32 v10, s8
	;; [unrolled: 1-line block ×3, first 2 shown]
	s_clause 0x1
	global_load_dwordx2 v[12:13], v6, s[6:7] offset:32 glc dlc
	global_load_dwordx2 v[0:1], v6, s[6:7] offset:40
	s_waitcnt vmcnt(0)
	v_readfirstlane_b32 s10, v0
	v_readfirstlane_b32 s11, v1
	s_and_b64 s[10:11], s[10:11], s[8:9]
	s_mul_i32 s11, s11, 24
	s_mul_hi_u32 s12, s10, 24
	s_mul_i32 s10, s10, 24
	s_add_i32 s12, s12, s11
	v_add_co_u32 v4, vcc_lo, v4, s10
	v_add_co_ci_u32_e64 v5, null, s12, v5, vcc_lo
	s_mov_b32 s10, exec_lo
	global_store_dwordx2 v[4:5], v[12:13], off
	s_waitcnt_vscnt null, 0x0
	global_atomic_cmpswap_x2 v[2:3], v6, v[10:13], s[6:7] offset:32 glc
	s_waitcnt vmcnt(0)
	v_cmpx_ne_u64_e64 v[2:3], v[12:13]
	s_cbranch_execz .LBB5_203
; %bb.201:
	s_mov_b32 s11, 0
.LBB5_202:                              ; =>This Inner Loop Header: Depth=1
	v_mov_b32_e32 v0, s8
	v_mov_b32_e32 v1, s9
	s_sleep 1
	global_store_dwordx2 v[4:5], v[2:3], off
	s_waitcnt_vscnt null, 0x0
	global_atomic_cmpswap_x2 v[0:1], v6, v[0:3], s[6:7] offset:32 glc
	s_waitcnt vmcnt(0)
	v_cmp_eq_u64_e32 vcc_lo, v[0:1], v[2:3]
	v_mov_b32_e32 v3, v1
	v_mov_b32_e32 v2, v0
	s_or_b32 s11, vcc_lo, s11
	s_andn2_b32 exec_lo, exec_lo, s11
	s_cbranch_execnz .LBB5_202
.LBB5_203:
	s_or_b32 exec_lo, exec_lo, s10
	v_mov_b32_e32 v3, 0
	s_mov_b32 s11, exec_lo
	s_mov_b32 s10, exec_lo
	v_mbcnt_lo_u32_b32 v2, s11, 0
	global_load_dwordx2 v[0:1], v3, s[6:7] offset:16
	v_cmpx_eq_u32_e32 0, v2
	s_cbranch_execz .LBB5_205
; %bb.204:
	s_bcnt1_i32_b32 s11, s11
	v_mov_b32_e32 v2, s11
	s_waitcnt vmcnt(0)
	global_atomic_add_x2 v[0:1], v[2:3], off offset:8
.LBB5_205:
	s_or_b32 exec_lo, exec_lo, s10
	s_waitcnt vmcnt(0)
	global_load_dwordx2 v[2:3], v[0:1], off offset:16
	s_waitcnt vmcnt(0)
	v_cmp_eq_u64_e32 vcc_lo, 0, v[2:3]
	s_cbranch_vccnz .LBB5_207
; %bb.206:
	global_load_dword v0, v[0:1], off offset:24
	v_mov_b32_e32 v1, 0
	s_waitcnt vmcnt(0)
	v_readfirstlane_b32 s10, v0
	s_waitcnt_vscnt null, 0x0
	global_store_dwordx2 v[2:3], v[0:1], off
	s_and_b32 m0, s10, 0x7fffff
	s_sendmsg sendmsg(MSG_INTERRUPT)
.LBB5_207:
	s_or_b32 exec_lo, exec_lo, s1
	s_branch .LBB5_211
	.p2align	6
.LBB5_208:                              ;   in Loop: Header=BB5_211 Depth=1
	s_or_b32 exec_lo, exec_lo, s1
	v_readfirstlane_b32 s1, v0
	s_cmp_eq_u32 s1, 0
	s_cbranch_scc1 .LBB5_210
; %bb.209:                              ;   in Loop: Header=BB5_211 Depth=1
	s_sleep 1
	s_cbranch_execnz .LBB5_211
	s_branch .LBB5_213
	.p2align	6
.LBB5_210:
	s_branch .LBB5_213
.LBB5_211:                              ; =>This Inner Loop Header: Depth=1
	v_mov_b32_e32 v0, 1
	s_and_saveexec_b32 s1, s0
	s_cbranch_execz .LBB5_208
; %bb.212:                              ;   in Loop: Header=BB5_211 Depth=1
	global_load_dword v0, v[8:9], off offset:20 glc dlc
	s_waitcnt vmcnt(0)
	buffer_gl1_inv
	buffer_gl0_inv
	v_and_b32_e32 v0, 1, v0
	s_branch .LBB5_208
.LBB5_213:
	s_and_saveexec_b32 s10, s0
	s_cbranch_execz .LBB5_217
; %bb.214:
	v_mov_b32_e32 v6, 0
	s_clause 0x2
	global_load_dwordx2 v[0:1], v6, s[6:7] offset:40
	global_load_dwordx2 v[9:10], v6, s[6:7] offset:24 glc dlc
	global_load_dwordx2 v[2:3], v6, s[6:7]
	s_waitcnt vmcnt(2)
	v_readfirstlane_b32 s12, v0
	v_readfirstlane_b32 s13, v1
	s_add_u32 s11, s12, 1
	s_addc_u32 s14, s13, 0
	s_add_u32 s0, s11, s8
	s_addc_u32 s1, s14, s9
	s_cmp_eq_u64 s[0:1], 0
	s_cselect_b32 s1, s14, s1
	s_cselect_b32 s0, s11, s0
	v_mov_b32_e32 v8, s1
	s_and_b64 s[8:9], s[0:1], s[12:13]
	v_mov_b32_e32 v7, s0
	s_mul_i32 s9, s9, 24
	s_mul_hi_u32 s11, s8, 24
	s_mul_i32 s8, s8, 24
	s_add_i32 s11, s11, s9
	s_waitcnt vmcnt(0)
	v_add_co_u32 v4, vcc_lo, v2, s8
	v_add_co_ci_u32_e64 v5, null, s11, v3, vcc_lo
	global_store_dwordx2 v[4:5], v[9:10], off
	s_waitcnt_vscnt null, 0x0
	global_atomic_cmpswap_x2 v[2:3], v6, v[7:10], s[6:7] offset:24 glc
	s_waitcnt vmcnt(0)
	v_cmp_ne_u64_e32 vcc_lo, v[2:3], v[9:10]
	s_and_b32 exec_lo, exec_lo, vcc_lo
	s_cbranch_execz .LBB5_217
; %bb.215:
	s_mov_b32 s8, 0
.LBB5_216:                              ; =>This Inner Loop Header: Depth=1
	v_mov_b32_e32 v0, s0
	v_mov_b32_e32 v1, s1
	s_sleep 1
	global_store_dwordx2 v[4:5], v[2:3], off
	s_waitcnt_vscnt null, 0x0
	global_atomic_cmpswap_x2 v[0:1], v6, v[0:3], s[6:7] offset:24 glc
	s_waitcnt vmcnt(0)
	v_cmp_eq_u64_e32 vcc_lo, v[0:1], v[2:3]
	v_mov_b32_e32 v3, v1
	v_mov_b32_e32 v2, v0
	s_or_b32 s8, vcc_lo, s8
	s_andn2_b32 exec_lo, exec_lo, s8
	s_cbranch_execnz .LBB5_216
.LBB5_217:
	s_or_b32 exec_lo, exec_lo, s10
	v_readfirstlane_b32 s0, v31
	v_mov_b32_e32 v6, 0
	v_mov_b32_e32 v7, 0
	v_cmp_eq_u32_e64 s0, s0, v31
	s_and_saveexec_b32 s1, s0
	s_cbranch_execz .LBB5_223
; %bb.218:
	v_mov_b32_e32 v0, 0
	s_mov_b32 s8, exec_lo
	global_load_dwordx2 v[3:4], v0, s[6:7] offset:24 glc dlc
	s_waitcnt vmcnt(0)
	buffer_gl1_inv
	buffer_gl0_inv
	s_clause 0x1
	global_load_dwordx2 v[1:2], v0, s[6:7] offset:40
	global_load_dwordx2 v[5:6], v0, s[6:7]
	s_waitcnt vmcnt(1)
	v_and_b32_e32 v2, v2, v4
	v_and_b32_e32 v1, v1, v3
	v_mul_lo_u32 v2, v2, 24
	v_mul_hi_u32 v7, v1, 24
	v_mul_lo_u32 v1, v1, 24
	v_add_nc_u32_e32 v2, v7, v2
	s_waitcnt vmcnt(0)
	v_add_co_u32 v1, vcc_lo, v5, v1
	v_add_co_ci_u32_e64 v2, null, v6, v2, vcc_lo
	global_load_dwordx2 v[1:2], v[1:2], off glc dlc
	s_waitcnt vmcnt(0)
	global_atomic_cmpswap_x2 v[6:7], v0, v[1:4], s[6:7] offset:24 glc
	s_waitcnt vmcnt(0)
	buffer_gl1_inv
	buffer_gl0_inv
	v_cmpx_ne_u64_e64 v[6:7], v[3:4]
	s_cbranch_execz .LBB5_222
; %bb.219:
	s_mov_b32 s9, 0
	.p2align	6
.LBB5_220:                              ; =>This Inner Loop Header: Depth=1
	s_sleep 1
	s_clause 0x1
	global_load_dwordx2 v[1:2], v0, s[6:7] offset:40
	global_load_dwordx2 v[8:9], v0, s[6:7]
	v_mov_b32_e32 v3, v6
	v_mov_b32_e32 v4, v7
	s_waitcnt vmcnt(1)
	v_and_b32_e32 v1, v1, v3
	v_and_b32_e32 v2, v2, v4
	s_waitcnt vmcnt(0)
	v_mad_u64_u32 v[5:6], null, v1, 24, v[8:9]
	v_mov_b32_e32 v1, v6
	v_mad_u64_u32 v[1:2], null, v2, 24, v[1:2]
	v_mov_b32_e32 v6, v1
	global_load_dwordx2 v[1:2], v[5:6], off glc dlc
	s_waitcnt vmcnt(0)
	global_atomic_cmpswap_x2 v[6:7], v0, v[1:4], s[6:7] offset:24 glc
	s_waitcnt vmcnt(0)
	buffer_gl1_inv
	buffer_gl0_inv
	v_cmp_eq_u64_e32 vcc_lo, v[6:7], v[3:4]
	s_or_b32 s9, vcc_lo, s9
	s_andn2_b32 exec_lo, exec_lo, s9
	s_cbranch_execnz .LBB5_220
; %bb.221:
	s_or_b32 exec_lo, exec_lo, s9
.LBB5_222:
	s_or_b32 exec_lo, exec_lo, s8
.LBB5_223:
	s_or_b32 exec_lo, exec_lo, s1
	v_mov_b32_e32 v5, 0
	v_readfirstlane_b32 s9, v7
	v_readfirstlane_b32 s8, v6
	s_mov_b32 s1, exec_lo
	s_clause 0x1
	global_load_dwordx2 v[8:9], v5, s[6:7] offset:40
	global_load_dwordx4 v[0:3], v5, s[6:7]
	s_waitcnt vmcnt(1)
	v_readfirstlane_b32 s10, v8
	v_readfirstlane_b32 s11, v9
	s_and_b64 s[10:11], s[10:11], s[8:9]
	s_mul_i32 s12, s11, 24
	s_mul_hi_u32 s13, s10, 24
	s_mul_i32 s14, s10, 24
	s_add_i32 s13, s13, s12
	s_waitcnt vmcnt(0)
	v_add_co_u32 v8, vcc_lo, v0, s14
	v_add_co_ci_u32_e64 v9, null, s13, v1, vcc_lo
	s_and_saveexec_b32 s12, s0
	s_cbranch_execz .LBB5_225
; %bb.224:
	v_mov_b32_e32 v4, s1
	v_mov_b32_e32 v6, 2
	;; [unrolled: 1-line block ×3, first 2 shown]
	global_store_dwordx4 v[8:9], v[4:7], off offset:8
.LBB5_225:
	s_or_b32 exec_lo, exec_lo, s12
	s_lshl_b64 s[10:11], s[10:11], 12
	s_mov_b32 s12, 0
	v_add_co_u32 v2, vcc_lo, v2, s10
	v_add_co_ci_u32_e64 v3, null, s11, v3, vcc_lo
	s_mov_b32 s13, s12
	v_add_co_u32 v10, vcc_lo, v2, v30
	s_mov_b32 s14, s12
	s_mov_b32 s15, s12
	v_mov_b32_e32 v4, 33
	v_mov_b32_e32 v6, v5
	;; [unrolled: 1-line block ×3, first 2 shown]
	v_readfirstlane_b32 s10, v2
	v_readfirstlane_b32 s11, v3
	v_mov_b32_e32 v12, s12
	v_add_co_ci_u32_e64 v11, null, 0, v3, vcc_lo
	v_mov_b32_e32 v13, s13
	v_mov_b32_e32 v14, s14
	;; [unrolled: 1-line block ×3, first 2 shown]
	global_store_dwordx4 v30, v[4:7], s[10:11]
	global_store_dwordx4 v30, v[12:15], s[10:11] offset:16
	global_store_dwordx4 v30, v[12:15], s[10:11] offset:32
	;; [unrolled: 1-line block ×3, first 2 shown]
	s_and_saveexec_b32 s1, s0
	s_cbranch_execz .LBB5_233
; %bb.226:
	v_mov_b32_e32 v6, 0
	v_mov_b32_e32 v12, s8
	;; [unrolled: 1-line block ×3, first 2 shown]
	s_clause 0x1
	global_load_dwordx2 v[14:15], v6, s[6:7] offset:32 glc dlc
	global_load_dwordx2 v[2:3], v6, s[6:7] offset:40
	s_waitcnt vmcnt(0)
	v_readfirstlane_b32 s10, v2
	v_readfirstlane_b32 s11, v3
	s_and_b64 s[10:11], s[10:11], s[8:9]
	s_mul_i32 s11, s11, 24
	s_mul_hi_u32 s12, s10, 24
	s_mul_i32 s10, s10, 24
	s_add_i32 s12, s12, s11
	v_add_co_u32 v4, vcc_lo, v0, s10
	v_add_co_ci_u32_e64 v5, null, s12, v1, vcc_lo
	s_mov_b32 s10, exec_lo
	global_store_dwordx2 v[4:5], v[14:15], off
	s_waitcnt_vscnt null, 0x0
	global_atomic_cmpswap_x2 v[2:3], v6, v[12:15], s[6:7] offset:32 glc
	s_waitcnt vmcnt(0)
	v_cmpx_ne_u64_e64 v[2:3], v[14:15]
	s_cbranch_execz .LBB5_229
; %bb.227:
	s_mov_b32 s11, 0
.LBB5_228:                              ; =>This Inner Loop Header: Depth=1
	v_mov_b32_e32 v0, s8
	v_mov_b32_e32 v1, s9
	s_sleep 1
	global_store_dwordx2 v[4:5], v[2:3], off
	s_waitcnt_vscnt null, 0x0
	global_atomic_cmpswap_x2 v[0:1], v6, v[0:3], s[6:7] offset:32 glc
	s_waitcnt vmcnt(0)
	v_cmp_eq_u64_e32 vcc_lo, v[0:1], v[2:3]
	v_mov_b32_e32 v3, v1
	v_mov_b32_e32 v2, v0
	s_or_b32 s11, vcc_lo, s11
	s_andn2_b32 exec_lo, exec_lo, s11
	s_cbranch_execnz .LBB5_228
.LBB5_229:
	s_or_b32 exec_lo, exec_lo, s10
	v_mov_b32_e32 v3, 0
	s_mov_b32 s11, exec_lo
	s_mov_b32 s10, exec_lo
	v_mbcnt_lo_u32_b32 v2, s11, 0
	global_load_dwordx2 v[0:1], v3, s[6:7] offset:16
	v_cmpx_eq_u32_e32 0, v2
	s_cbranch_execz .LBB5_231
; %bb.230:
	s_bcnt1_i32_b32 s11, s11
	v_mov_b32_e32 v2, s11
	s_waitcnt vmcnt(0)
	global_atomic_add_x2 v[0:1], v[2:3], off offset:8
.LBB5_231:
	s_or_b32 exec_lo, exec_lo, s10
	s_waitcnt vmcnt(0)
	global_load_dwordx2 v[2:3], v[0:1], off offset:16
	s_waitcnt vmcnt(0)
	v_cmp_eq_u64_e32 vcc_lo, 0, v[2:3]
	s_cbranch_vccnz .LBB5_233
; %bb.232:
	global_load_dword v0, v[0:1], off offset:24
	v_mov_b32_e32 v1, 0
	s_waitcnt vmcnt(0)
	v_readfirstlane_b32 s10, v0
	s_waitcnt_vscnt null, 0x0
	global_store_dwordx2 v[2:3], v[0:1], off
	s_and_b32 m0, s10, 0x7fffff
	s_sendmsg sendmsg(MSG_INTERRUPT)
.LBB5_233:
	s_or_b32 exec_lo, exec_lo, s1
	s_branch .LBB5_237
	.p2align	6
.LBB5_234:                              ;   in Loop: Header=BB5_237 Depth=1
	s_or_b32 exec_lo, exec_lo, s1
	v_readfirstlane_b32 s1, v0
	s_cmp_eq_u32 s1, 0
	s_cbranch_scc1 .LBB5_236
; %bb.235:                              ;   in Loop: Header=BB5_237 Depth=1
	s_sleep 1
	s_cbranch_execnz .LBB5_237
	s_branch .LBB5_239
	.p2align	6
.LBB5_236:
	s_branch .LBB5_239
.LBB5_237:                              ; =>This Inner Loop Header: Depth=1
	v_mov_b32_e32 v0, 1
	s_and_saveexec_b32 s1, s0
	s_cbranch_execz .LBB5_234
; %bb.238:                              ;   in Loop: Header=BB5_237 Depth=1
	global_load_dword v0, v[8:9], off offset:20 glc dlc
	s_waitcnt vmcnt(0)
	buffer_gl1_inv
	buffer_gl0_inv
	v_and_b32_e32 v0, 1, v0
	s_branch .LBB5_234
.LBB5_239:
	global_load_dwordx2 v[0:1], v[10:11], off
	s_and_saveexec_b32 s10, s0
	s_cbranch_execz .LBB5_243
; %bb.240:
	v_mov_b32_e32 v8, 0
	s_clause 0x2
	global_load_dwordx2 v[2:3], v8, s[6:7] offset:40
	global_load_dwordx2 v[11:12], v8, s[6:7] offset:24 glc dlc
	global_load_dwordx2 v[4:5], v8, s[6:7]
	s_waitcnt vmcnt(2)
	v_readfirstlane_b32 s12, v2
	v_readfirstlane_b32 s13, v3
	s_add_u32 s11, s12, 1
	s_addc_u32 s14, s13, 0
	s_add_u32 s0, s11, s8
	s_addc_u32 s1, s14, s9
	s_cmp_eq_u64 s[0:1], 0
	s_cselect_b32 s1, s14, s1
	s_cselect_b32 s0, s11, s0
	v_mov_b32_e32 v10, s1
	s_and_b64 s[8:9], s[0:1], s[12:13]
	v_mov_b32_e32 v9, s0
	s_mul_i32 s9, s9, 24
	s_mul_hi_u32 s11, s8, 24
	s_mul_i32 s8, s8, 24
	s_add_i32 s11, s11, s9
	s_waitcnt vmcnt(0)
	v_add_co_u32 v6, vcc_lo, v4, s8
	v_add_co_ci_u32_e64 v7, null, s11, v5, vcc_lo
	global_store_dwordx2 v[6:7], v[11:12], off
	s_waitcnt_vscnt null, 0x0
	global_atomic_cmpswap_x2 v[4:5], v8, v[9:12], s[6:7] offset:24 glc
	s_waitcnt vmcnt(0)
	v_cmp_ne_u64_e32 vcc_lo, v[4:5], v[11:12]
	s_and_b32 exec_lo, exec_lo, vcc_lo
	s_cbranch_execz .LBB5_243
; %bb.241:
	s_mov_b32 s8, 0
.LBB5_242:                              ; =>This Inner Loop Header: Depth=1
	v_mov_b32_e32 v2, s0
	v_mov_b32_e32 v3, s1
	s_sleep 1
	global_store_dwordx2 v[6:7], v[4:5], off
	s_waitcnt_vscnt null, 0x0
	global_atomic_cmpswap_x2 v[2:3], v8, v[2:5], s[6:7] offset:24 glc
	s_waitcnt vmcnt(0)
	v_cmp_eq_u64_e32 vcc_lo, v[2:3], v[4:5]
	v_mov_b32_e32 v5, v3
	v_mov_b32_e32 v4, v2
	s_or_b32 s8, vcc_lo, s8
	s_andn2_b32 exec_lo, exec_lo, s8
	s_cbranch_execnz .LBB5_242
.LBB5_243:
	s_or_b32 exec_lo, exec_lo, s10
	s_getpc_b64 s[8:9]
	s_add_u32 s8, s8, .str.1@rel32@lo+4
	s_addc_u32 s9, s9, .str.1@rel32@hi+12
	s_cmp_lg_u64 s[8:9], 0
	s_cbranch_scc0 .LBB5_322
; %bb.244:
	s_waitcnt vmcnt(0)
	v_and_b32_e32 v32, 2, v0
	v_mov_b32_e32 v7, 0
	v_and_b32_e32 v2, -3, v0
	v_mov_b32_e32 v3, v1
	v_mov_b32_e32 v8, 2
	;; [unrolled: 1-line block ×3, first 2 shown]
	s_mov_b64 s[10:11], 48
	s_branch .LBB5_246
.LBB5_245:                              ;   in Loop: Header=BB5_246 Depth=1
	s_or_b32 exec_lo, exec_lo, s16
	s_sub_u32 s10, s10, s12
	s_subb_u32 s11, s11, s13
	s_add_u32 s8, s8, s12
	s_addc_u32 s9, s9, s13
	s_cmp_lg_u64 s[10:11], 0
	s_cbranch_scc0 .LBB5_321
.LBB5_246:                              ; =>This Loop Header: Depth=1
                                        ;     Child Loop BB5_249 Depth 2
                                        ;     Child Loop BB5_256 Depth 2
	;; [unrolled: 1-line block ×11, first 2 shown]
	v_cmp_lt_u64_e64 s0, s[10:11], 56
	v_cmp_gt_u64_e64 s14, s[10:11], 7
	s_and_b32 s0, s0, exec_lo
	s_cselect_b32 s13, s11, 0
	s_cselect_b32 s12, s10, 56
	s_add_u32 s0, s8, 8
	s_addc_u32 s1, s9, 0
	s_and_b32 vcc_lo, exec_lo, s14
	s_cbranch_vccnz .LBB5_251
; %bb.247:                              ;   in Loop: Header=BB5_246 Depth=1
	v_mov_b32_e32 v4, 0
	v_mov_b32_e32 v5, 0
	s_cmp_eq_u64 s[10:11], 0
	s_cbranch_scc1 .LBB5_250
; %bb.248:                              ;   in Loop: Header=BB5_246 Depth=1
	s_lshl_b64 s[0:1], s[12:13], 3
	s_mov_b64 s[14:15], 0
	s_mov_b64 s[16:17], s[8:9]
.LBB5_249:                              ;   Parent Loop BB5_246 Depth=1
                                        ; =>  This Inner Loop Header: Depth=2
	global_load_ubyte v6, v7, s[16:17]
	s_waitcnt vmcnt(0)
	v_and_b32_e32 v6, 0xffff, v6
	v_lshlrev_b64 v[10:11], s14, v[6:7]
	s_add_u32 s14, s14, 8
	s_addc_u32 s15, s15, 0
	s_add_u32 s16, s16, 1
	s_addc_u32 s17, s17, 0
	s_cmp_lg_u32 s0, s14
	v_or_b32_e32 v4, v10, v4
	v_or_b32_e32 v5, v11, v5
	s_cbranch_scc1 .LBB5_249
.LBB5_250:                              ;   in Loop: Header=BB5_246 Depth=1
	s_mov_b64 s[0:1], s[8:9]
	s_mov_b32 s18, 0
	s_cbranch_execz .LBB5_252
	s_branch .LBB5_253
.LBB5_251:                              ;   in Loop: Header=BB5_246 Depth=1
	s_mov_b32 s18, 0
.LBB5_252:                              ;   in Loop: Header=BB5_246 Depth=1
	global_load_dwordx2 v[4:5], v7, s[8:9]
	s_add_i32 s18, s12, -8
.LBB5_253:                              ;   in Loop: Header=BB5_246 Depth=1
	s_add_u32 s14, s0, 8
	s_addc_u32 s15, s1, 0
	s_cmp_gt_u32 s18, 7
	s_cbranch_scc1 .LBB5_258
; %bb.254:                              ;   in Loop: Header=BB5_246 Depth=1
	v_mov_b32_e32 v10, 0
	v_mov_b32_e32 v11, 0
	s_cmp_eq_u32 s18, 0
	s_cbranch_scc1 .LBB5_257
; %bb.255:                              ;   in Loop: Header=BB5_246 Depth=1
	s_mov_b64 s[14:15], 0
	s_mov_b64 s[16:17], 0
.LBB5_256:                              ;   Parent Loop BB5_246 Depth=1
                                        ; =>  This Inner Loop Header: Depth=2
	s_add_u32 s24, s0, s16
	s_addc_u32 s25, s1, s17
	s_add_u32 s16, s16, 1
	global_load_ubyte v6, v7, s[24:25]
	s_addc_u32 s17, s17, 0
	s_waitcnt vmcnt(0)
	v_and_b32_e32 v6, 0xffff, v6
	v_lshlrev_b64 v[12:13], s14, v[6:7]
	s_add_u32 s14, s14, 8
	s_addc_u32 s15, s15, 0
	s_cmp_lg_u32 s18, s16
	v_or_b32_e32 v10, v12, v10
	v_or_b32_e32 v11, v13, v11
	s_cbranch_scc1 .LBB5_256
.LBB5_257:                              ;   in Loop: Header=BB5_246 Depth=1
	s_mov_b64 s[14:15], s[0:1]
	s_mov_b32 s19, 0
	s_cbranch_execz .LBB5_259
	s_branch .LBB5_260
.LBB5_258:                              ;   in Loop: Header=BB5_246 Depth=1
                                        ; implicit-def: $vgpr10_vgpr11
	s_mov_b32 s19, 0
.LBB5_259:                              ;   in Loop: Header=BB5_246 Depth=1
	global_load_dwordx2 v[10:11], v7, s[0:1]
	s_add_i32 s19, s18, -8
.LBB5_260:                              ;   in Loop: Header=BB5_246 Depth=1
	s_add_u32 s0, s14, 8
	s_addc_u32 s1, s15, 0
	s_cmp_gt_u32 s19, 7
	s_cbranch_scc1 .LBB5_265
; %bb.261:                              ;   in Loop: Header=BB5_246 Depth=1
	v_mov_b32_e32 v12, 0
	v_mov_b32_e32 v13, 0
	s_cmp_eq_u32 s19, 0
	s_cbranch_scc1 .LBB5_264
; %bb.262:                              ;   in Loop: Header=BB5_246 Depth=1
	s_mov_b64 s[0:1], 0
	s_mov_b64 s[16:17], 0
.LBB5_263:                              ;   Parent Loop BB5_246 Depth=1
                                        ; =>  This Inner Loop Header: Depth=2
	s_add_u32 s24, s14, s16
	s_addc_u32 s25, s15, s17
	s_add_u32 s16, s16, 1
	global_load_ubyte v6, v7, s[24:25]
	s_addc_u32 s17, s17, 0
	s_waitcnt vmcnt(0)
	v_and_b32_e32 v6, 0xffff, v6
	v_lshlrev_b64 v[14:15], s0, v[6:7]
	s_add_u32 s0, s0, 8
	s_addc_u32 s1, s1, 0
	s_cmp_lg_u32 s19, s16
	v_or_b32_e32 v12, v14, v12
	v_or_b32_e32 v13, v15, v13
	s_cbranch_scc1 .LBB5_263
.LBB5_264:                              ;   in Loop: Header=BB5_246 Depth=1
	s_mov_b64 s[0:1], s[14:15]
	s_mov_b32 s18, 0
	s_cbranch_execz .LBB5_266
	s_branch .LBB5_267
.LBB5_265:                              ;   in Loop: Header=BB5_246 Depth=1
	s_mov_b32 s18, 0
.LBB5_266:                              ;   in Loop: Header=BB5_246 Depth=1
	global_load_dwordx2 v[12:13], v7, s[14:15]
	s_add_i32 s18, s19, -8
.LBB5_267:                              ;   in Loop: Header=BB5_246 Depth=1
	s_add_u32 s14, s0, 8
	s_addc_u32 s15, s1, 0
	s_cmp_gt_u32 s18, 7
	s_cbranch_scc1 .LBB5_272
; %bb.268:                              ;   in Loop: Header=BB5_246 Depth=1
	v_mov_b32_e32 v14, 0
	v_mov_b32_e32 v15, 0
	s_cmp_eq_u32 s18, 0
	s_cbranch_scc1 .LBB5_271
; %bb.269:                              ;   in Loop: Header=BB5_246 Depth=1
	s_mov_b64 s[14:15], 0
	s_mov_b64 s[16:17], 0
.LBB5_270:                              ;   Parent Loop BB5_246 Depth=1
                                        ; =>  This Inner Loop Header: Depth=2
	s_add_u32 s24, s0, s16
	s_addc_u32 s25, s1, s17
	s_add_u32 s16, s16, 1
	global_load_ubyte v6, v7, s[24:25]
	s_addc_u32 s17, s17, 0
	s_waitcnt vmcnt(0)
	v_and_b32_e32 v6, 0xffff, v6
	v_lshlrev_b64 v[16:17], s14, v[6:7]
	s_add_u32 s14, s14, 8
	s_addc_u32 s15, s15, 0
	s_cmp_lg_u32 s18, s16
	v_or_b32_e32 v14, v16, v14
	v_or_b32_e32 v15, v17, v15
	s_cbranch_scc1 .LBB5_270
.LBB5_271:                              ;   in Loop: Header=BB5_246 Depth=1
	s_mov_b64 s[14:15], s[0:1]
	s_mov_b32 s19, 0
	s_cbranch_execz .LBB5_273
	s_branch .LBB5_274
.LBB5_272:                              ;   in Loop: Header=BB5_246 Depth=1
                                        ; implicit-def: $vgpr14_vgpr15
	s_mov_b32 s19, 0
.LBB5_273:                              ;   in Loop: Header=BB5_246 Depth=1
	global_load_dwordx2 v[14:15], v7, s[0:1]
	s_add_i32 s19, s18, -8
.LBB5_274:                              ;   in Loop: Header=BB5_246 Depth=1
	s_add_u32 s0, s14, 8
	s_addc_u32 s1, s15, 0
	s_cmp_gt_u32 s19, 7
	s_cbranch_scc1 .LBB5_279
; %bb.275:                              ;   in Loop: Header=BB5_246 Depth=1
	v_mov_b32_e32 v16, 0
	v_mov_b32_e32 v17, 0
	s_cmp_eq_u32 s19, 0
	s_cbranch_scc1 .LBB5_278
; %bb.276:                              ;   in Loop: Header=BB5_246 Depth=1
	s_mov_b64 s[0:1], 0
	s_mov_b64 s[16:17], 0
.LBB5_277:                              ;   Parent Loop BB5_246 Depth=1
                                        ; =>  This Inner Loop Header: Depth=2
	s_add_u32 s24, s14, s16
	s_addc_u32 s25, s15, s17
	s_add_u32 s16, s16, 1
	global_load_ubyte v6, v7, s[24:25]
	s_addc_u32 s17, s17, 0
	s_waitcnt vmcnt(0)
	v_and_b32_e32 v6, 0xffff, v6
	v_lshlrev_b64 v[18:19], s0, v[6:7]
	s_add_u32 s0, s0, 8
	s_addc_u32 s1, s1, 0
	s_cmp_lg_u32 s19, s16
	v_or_b32_e32 v16, v18, v16
	v_or_b32_e32 v17, v19, v17
	s_cbranch_scc1 .LBB5_277
.LBB5_278:                              ;   in Loop: Header=BB5_246 Depth=1
	s_mov_b64 s[0:1], s[14:15]
	s_mov_b32 s18, 0
	s_cbranch_execz .LBB5_280
	s_branch .LBB5_281
.LBB5_279:                              ;   in Loop: Header=BB5_246 Depth=1
	s_mov_b32 s18, 0
.LBB5_280:                              ;   in Loop: Header=BB5_246 Depth=1
	global_load_dwordx2 v[16:17], v7, s[14:15]
	s_add_i32 s18, s19, -8
.LBB5_281:                              ;   in Loop: Header=BB5_246 Depth=1
	s_add_u32 s14, s0, 8
	s_addc_u32 s15, s1, 0
	s_cmp_gt_u32 s18, 7
	s_cbranch_scc1 .LBB5_286
; %bb.282:                              ;   in Loop: Header=BB5_246 Depth=1
	v_mov_b32_e32 v18, 0
	v_mov_b32_e32 v19, 0
	s_cmp_eq_u32 s18, 0
	s_cbranch_scc1 .LBB5_285
; %bb.283:                              ;   in Loop: Header=BB5_246 Depth=1
	s_mov_b64 s[14:15], 0
	s_mov_b64 s[16:17], 0
.LBB5_284:                              ;   Parent Loop BB5_246 Depth=1
                                        ; =>  This Inner Loop Header: Depth=2
	s_add_u32 s24, s0, s16
	s_addc_u32 s25, s1, s17
	s_add_u32 s16, s16, 1
	global_load_ubyte v6, v7, s[24:25]
	s_addc_u32 s17, s17, 0
	s_waitcnt vmcnt(0)
	v_and_b32_e32 v6, 0xffff, v6
	v_lshlrev_b64 v[20:21], s14, v[6:7]
	s_add_u32 s14, s14, 8
	s_addc_u32 s15, s15, 0
	s_cmp_lg_u32 s18, s16
	v_or_b32_e32 v18, v20, v18
	v_or_b32_e32 v19, v21, v19
	s_cbranch_scc1 .LBB5_284
.LBB5_285:                              ;   in Loop: Header=BB5_246 Depth=1
	s_mov_b64 s[14:15], s[0:1]
	s_mov_b32 s19, 0
	s_cbranch_execz .LBB5_287
	s_branch .LBB5_288
.LBB5_286:                              ;   in Loop: Header=BB5_246 Depth=1
                                        ; implicit-def: $vgpr18_vgpr19
	s_mov_b32 s19, 0
.LBB5_287:                              ;   in Loop: Header=BB5_246 Depth=1
	global_load_dwordx2 v[18:19], v7, s[0:1]
	s_add_i32 s19, s18, -8
.LBB5_288:                              ;   in Loop: Header=BB5_246 Depth=1
	s_cmp_gt_u32 s19, 7
	s_cbranch_scc1 .LBB5_293
; %bb.289:                              ;   in Loop: Header=BB5_246 Depth=1
	v_mov_b32_e32 v20, 0
	v_mov_b32_e32 v21, 0
	s_cmp_eq_u32 s19, 0
	s_cbranch_scc1 .LBB5_292
; %bb.290:                              ;   in Loop: Header=BB5_246 Depth=1
	s_mov_b64 s[0:1], 0
	s_mov_b64 s[16:17], s[14:15]
.LBB5_291:                              ;   Parent Loop BB5_246 Depth=1
                                        ; =>  This Inner Loop Header: Depth=2
	global_load_ubyte v6, v7, s[16:17]
	s_add_i32 s19, s19, -1
	s_waitcnt vmcnt(0)
	v_and_b32_e32 v6, 0xffff, v6
	v_lshlrev_b64 v[22:23], s0, v[6:7]
	s_add_u32 s0, s0, 8
	s_addc_u32 s1, s1, 0
	s_add_u32 s16, s16, 1
	s_addc_u32 s17, s17, 0
	s_cmp_lg_u32 s19, 0
	v_or_b32_e32 v20, v22, v20
	v_or_b32_e32 v21, v23, v21
	s_cbranch_scc1 .LBB5_291
.LBB5_292:                              ;   in Loop: Header=BB5_246 Depth=1
	s_cbranch_execz .LBB5_294
	s_branch .LBB5_295
.LBB5_293:                              ;   in Loop: Header=BB5_246 Depth=1
.LBB5_294:                              ;   in Loop: Header=BB5_246 Depth=1
	global_load_dwordx2 v[20:21], v7, s[14:15]
.LBB5_295:                              ;   in Loop: Header=BB5_246 Depth=1
	v_readfirstlane_b32 s0, v31
	v_mov_b32_e32 v27, 0
	v_mov_b32_e32 v28, 0
	v_cmp_eq_u32_e64 s0, s0, v31
	s_and_saveexec_b32 s1, s0
	s_cbranch_execz .LBB5_301
; %bb.296:                              ;   in Loop: Header=BB5_246 Depth=1
	global_load_dwordx2 v[24:25], v7, s[6:7] offset:24 glc dlc
	s_waitcnt vmcnt(0)
	buffer_gl1_inv
	buffer_gl0_inv
	s_clause 0x1
	global_load_dwordx2 v[22:23], v7, s[6:7] offset:40
	global_load_dwordx2 v[27:28], v7, s[6:7]
	s_mov_b32 s14, exec_lo
	s_waitcnt vmcnt(1)
	v_and_b32_e32 v6, v23, v25
	v_and_b32_e32 v22, v22, v24
	v_mul_lo_u32 v6, v6, 24
	v_mul_hi_u32 v23, v22, 24
	v_mul_lo_u32 v22, v22, 24
	v_add_nc_u32_e32 v6, v23, v6
	s_waitcnt vmcnt(0)
	v_add_co_u32 v22, vcc_lo, v27, v22
	v_add_co_ci_u32_e64 v23, null, v28, v6, vcc_lo
	global_load_dwordx2 v[22:23], v[22:23], off glc dlc
	s_waitcnt vmcnt(0)
	global_atomic_cmpswap_x2 v[27:28], v7, v[22:25], s[6:7] offset:24 glc
	s_waitcnt vmcnt(0)
	buffer_gl1_inv
	buffer_gl0_inv
	v_cmpx_ne_u64_e64 v[27:28], v[24:25]
	s_cbranch_execz .LBB5_300
; %bb.297:                              ;   in Loop: Header=BB5_246 Depth=1
	s_mov_b32 s15, 0
	.p2align	6
.LBB5_298:                              ;   Parent Loop BB5_246 Depth=1
                                        ; =>  This Inner Loop Header: Depth=2
	s_sleep 1
	s_clause 0x1
	global_load_dwordx2 v[22:23], v7, s[6:7] offset:40
	global_load_dwordx2 v[33:34], v7, s[6:7]
	v_mov_b32_e32 v24, v27
	v_mov_b32_e32 v25, v28
	s_waitcnt vmcnt(1)
	v_and_b32_e32 v6, v22, v24
	v_and_b32_e32 v22, v23, v25
	s_waitcnt vmcnt(0)
	v_mad_u64_u32 v[27:28], null, v6, 24, v[33:34]
	v_mov_b32_e32 v6, v28
	v_mad_u64_u32 v[22:23], null, v22, 24, v[6:7]
	v_mov_b32_e32 v28, v22
	global_load_dwordx2 v[22:23], v[27:28], off glc dlc
	s_waitcnt vmcnt(0)
	global_atomic_cmpswap_x2 v[27:28], v7, v[22:25], s[6:7] offset:24 glc
	s_waitcnt vmcnt(0)
	buffer_gl1_inv
	buffer_gl0_inv
	v_cmp_eq_u64_e32 vcc_lo, v[27:28], v[24:25]
	s_or_b32 s15, vcc_lo, s15
	s_andn2_b32 exec_lo, exec_lo, s15
	s_cbranch_execnz .LBB5_298
; %bb.299:                              ;   in Loop: Header=BB5_246 Depth=1
	s_or_b32 exec_lo, exec_lo, s15
.LBB5_300:                              ;   in Loop: Header=BB5_246 Depth=1
	s_or_b32 exec_lo, exec_lo, s14
.LBB5_301:                              ;   in Loop: Header=BB5_246 Depth=1
	s_or_b32 exec_lo, exec_lo, s1
	s_clause 0x1
	global_load_dwordx2 v[33:34], v7, s[6:7] offset:40
	global_load_dwordx4 v[22:25], v7, s[6:7]
	v_readfirstlane_b32 s15, v28
	v_readfirstlane_b32 s14, v27
	s_mov_b32 s1, exec_lo
	s_waitcnt vmcnt(1)
	v_readfirstlane_b32 s16, v33
	v_readfirstlane_b32 s17, v34
	s_and_b64 s[16:17], s[16:17], s[14:15]
	s_mul_i32 s18, s17, 24
	s_mul_hi_u32 s19, s16, 24
	s_mul_i32 s24, s16, 24
	s_add_i32 s19, s19, s18
	s_waitcnt vmcnt(0)
	v_add_co_u32 v27, vcc_lo, v22, s24
	v_add_co_ci_u32_e64 v28, null, s19, v23, vcc_lo
	s_and_saveexec_b32 s18, s0
	s_cbranch_execz .LBB5_303
; %bb.302:                              ;   in Loop: Header=BB5_246 Depth=1
	v_mov_b32_e32 v6, s1
	global_store_dwordx4 v[27:28], v[6:9], off offset:8
.LBB5_303:                              ;   in Loop: Header=BB5_246 Depth=1
	s_or_b32 exec_lo, exec_lo, s18
	v_cmp_lt_u64_e64 vcc_lo, s[10:11], 57
	s_lshl_b64 s[16:17], s[16:17], 12
	v_and_b32_e32 v2, 0xffffff1f, v2
	s_lshl_b32 s1, s12, 2
	s_add_i32 s1, s1, 28
	v_cndmask_b32_e32 v6, 0, v32, vcc_lo
	v_add_co_u32 v24, vcc_lo, v24, s16
	v_add_co_ci_u32_e64 v25, null, s17, v25, vcc_lo
	v_or_b32_e32 v2, v2, v6
	v_readfirstlane_b32 s16, v24
	v_readfirstlane_b32 s17, v25
	v_and_or_b32 v2, 0x1e0, s1, v2
	global_store_dwordx4 v30, v[10:13], s[16:17] offset:16
	global_store_dwordx4 v30, v[2:5], s[16:17]
	global_store_dwordx4 v30, v[14:17], s[16:17] offset:32
	global_store_dwordx4 v30, v[18:21], s[16:17] offset:48
	s_and_saveexec_b32 s1, s0
	s_cbranch_execz .LBB5_311
; %bb.304:                              ;   in Loop: Header=BB5_246 Depth=1
	s_clause 0x1
	global_load_dwordx2 v[14:15], v7, s[6:7] offset:32 glc dlc
	global_load_dwordx2 v[2:3], v7, s[6:7] offset:40
	v_mov_b32_e32 v12, s14
	v_mov_b32_e32 v13, s15
	s_waitcnt vmcnt(0)
	v_readfirstlane_b32 s16, v2
	v_readfirstlane_b32 s17, v3
	s_and_b64 s[16:17], s[16:17], s[14:15]
	s_mul_i32 s17, s17, 24
	s_mul_hi_u32 s18, s16, 24
	s_mul_i32 s16, s16, 24
	s_add_i32 s18, s18, s17
	v_add_co_u32 v10, vcc_lo, v22, s16
	v_add_co_ci_u32_e64 v11, null, s18, v23, vcc_lo
	s_mov_b32 s16, exec_lo
	global_store_dwordx2 v[10:11], v[14:15], off
	s_waitcnt_vscnt null, 0x0
	global_atomic_cmpswap_x2 v[4:5], v7, v[12:15], s[6:7] offset:32 glc
	s_waitcnt vmcnt(0)
	v_cmpx_ne_u64_e64 v[4:5], v[14:15]
	s_cbranch_execz .LBB5_307
; %bb.305:                              ;   in Loop: Header=BB5_246 Depth=1
	s_mov_b32 s17, 0
.LBB5_306:                              ;   Parent Loop BB5_246 Depth=1
                                        ; =>  This Inner Loop Header: Depth=2
	v_mov_b32_e32 v2, s14
	v_mov_b32_e32 v3, s15
	s_sleep 1
	global_store_dwordx2 v[10:11], v[4:5], off
	s_waitcnt_vscnt null, 0x0
	global_atomic_cmpswap_x2 v[2:3], v7, v[2:5], s[6:7] offset:32 glc
	s_waitcnt vmcnt(0)
	v_cmp_eq_u64_e32 vcc_lo, v[2:3], v[4:5]
	v_mov_b32_e32 v5, v3
	v_mov_b32_e32 v4, v2
	s_or_b32 s17, vcc_lo, s17
	s_andn2_b32 exec_lo, exec_lo, s17
	s_cbranch_execnz .LBB5_306
.LBB5_307:                              ;   in Loop: Header=BB5_246 Depth=1
	s_or_b32 exec_lo, exec_lo, s16
	global_load_dwordx2 v[2:3], v7, s[6:7] offset:16
	s_mov_b32 s17, exec_lo
	s_mov_b32 s16, exec_lo
	v_mbcnt_lo_u32_b32 v4, s17, 0
	v_cmpx_eq_u32_e32 0, v4
	s_cbranch_execz .LBB5_309
; %bb.308:                              ;   in Loop: Header=BB5_246 Depth=1
	s_bcnt1_i32_b32 s17, s17
	v_mov_b32_e32 v6, s17
	s_waitcnt vmcnt(0)
	global_atomic_add_x2 v[2:3], v[6:7], off offset:8
.LBB5_309:                              ;   in Loop: Header=BB5_246 Depth=1
	s_or_b32 exec_lo, exec_lo, s16
	s_waitcnt vmcnt(0)
	global_load_dwordx2 v[4:5], v[2:3], off offset:16
	s_waitcnt vmcnt(0)
	v_cmp_eq_u64_e32 vcc_lo, 0, v[4:5]
	s_cbranch_vccnz .LBB5_311
; %bb.310:                              ;   in Loop: Header=BB5_246 Depth=1
	global_load_dword v6, v[2:3], off offset:24
	s_waitcnt vmcnt(0)
	v_readfirstlane_b32 s16, v6
	s_waitcnt_vscnt null, 0x0
	global_store_dwordx2 v[4:5], v[6:7], off
	s_and_b32 m0, s16, 0x7fffff
	s_sendmsg sendmsg(MSG_INTERRUPT)
.LBB5_311:                              ;   in Loop: Header=BB5_246 Depth=1
	s_or_b32 exec_lo, exec_lo, s1
	v_add_co_u32 v2, vcc_lo, v24, v30
	v_add_co_ci_u32_e64 v3, null, 0, v25, vcc_lo
	s_branch .LBB5_315
	.p2align	6
.LBB5_312:                              ;   in Loop: Header=BB5_315 Depth=2
	s_or_b32 exec_lo, exec_lo, s1
	v_readfirstlane_b32 s1, v4
	s_cmp_eq_u32 s1, 0
	s_cbranch_scc1 .LBB5_314
; %bb.313:                              ;   in Loop: Header=BB5_315 Depth=2
	s_sleep 1
	s_cbranch_execnz .LBB5_315
	s_branch .LBB5_317
	.p2align	6
.LBB5_314:                              ;   in Loop: Header=BB5_246 Depth=1
	s_branch .LBB5_317
.LBB5_315:                              ;   Parent Loop BB5_246 Depth=1
                                        ; =>  This Inner Loop Header: Depth=2
	v_mov_b32_e32 v4, 1
	s_and_saveexec_b32 s1, s0
	s_cbranch_execz .LBB5_312
; %bb.316:                              ;   in Loop: Header=BB5_315 Depth=2
	global_load_dword v4, v[27:28], off offset:20 glc dlc
	s_waitcnt vmcnt(0)
	buffer_gl1_inv
	buffer_gl0_inv
	v_and_b32_e32 v4, 1, v4
	s_branch .LBB5_312
.LBB5_317:                              ;   in Loop: Header=BB5_246 Depth=1
	global_load_dwordx2 v[2:3], v[2:3], off
	s_and_saveexec_b32 s16, s0
	s_cbranch_execz .LBB5_245
; %bb.318:                              ;   in Loop: Header=BB5_246 Depth=1
	s_clause 0x2
	global_load_dwordx2 v[4:5], v7, s[6:7] offset:40
	global_load_dwordx2 v[14:15], v7, s[6:7] offset:24 glc dlc
	global_load_dwordx2 v[10:11], v7, s[6:7]
	s_waitcnt vmcnt(2)
	v_readfirstlane_b32 s18, v4
	v_readfirstlane_b32 s19, v5
	s_add_u32 s17, s18, 1
	s_addc_u32 s24, s19, 0
	s_add_u32 s0, s17, s14
	s_addc_u32 s1, s24, s15
	s_cmp_eq_u64 s[0:1], 0
	s_cselect_b32 s1, s24, s1
	s_cselect_b32 s0, s17, s0
	v_mov_b32_e32 v13, s1
	s_and_b64 s[14:15], s[0:1], s[18:19]
	v_mov_b32_e32 v12, s0
	s_mul_i32 s15, s15, 24
	s_mul_hi_u32 s17, s14, 24
	s_mul_i32 s14, s14, 24
	s_add_i32 s17, s17, s15
	s_waitcnt vmcnt(0)
	v_add_co_u32 v4, vcc_lo, v10, s14
	v_add_co_ci_u32_e64 v5, null, s17, v11, vcc_lo
	global_store_dwordx2 v[4:5], v[14:15], off
	s_waitcnt_vscnt null, 0x0
	global_atomic_cmpswap_x2 v[12:13], v7, v[12:15], s[6:7] offset:24 glc
	s_waitcnt vmcnt(0)
	v_cmp_ne_u64_e32 vcc_lo, v[12:13], v[14:15]
	s_and_b32 exec_lo, exec_lo, vcc_lo
	s_cbranch_execz .LBB5_245
; %bb.319:                              ;   in Loop: Header=BB5_246 Depth=1
	s_mov_b32 s14, 0
.LBB5_320:                              ;   Parent Loop BB5_246 Depth=1
                                        ; =>  This Inner Loop Header: Depth=2
	v_mov_b32_e32 v10, s0
	v_mov_b32_e32 v11, s1
	s_sleep 1
	global_store_dwordx2 v[4:5], v[12:13], off
	s_waitcnt_vscnt null, 0x0
	global_atomic_cmpswap_x2 v[10:11], v7, v[10:13], s[6:7] offset:24 glc
	s_waitcnt vmcnt(0)
	v_cmp_eq_u64_e32 vcc_lo, v[10:11], v[12:13]
	v_mov_b32_e32 v13, v11
	v_mov_b32_e32 v12, v10
	s_or_b32 s14, vcc_lo, s14
	s_andn2_b32 exec_lo, exec_lo, s14
	s_cbranch_execnz .LBB5_320
	s_branch .LBB5_245
.LBB5_321:
	s_branch .LBB5_350
.LBB5_322:
                                        ; implicit-def: $vgpr2_vgpr3
	s_cbranch_execz .LBB5_350
; %bb.323:
	v_readfirstlane_b32 s0, v31
	v_mov_b32_e32 v8, 0
	v_mov_b32_e32 v9, 0
	v_cmp_eq_u32_e64 s0, s0, v31
	s_and_saveexec_b32 s1, s0
	s_cbranch_execz .LBB5_329
; %bb.324:
	s_waitcnt vmcnt(0)
	v_mov_b32_e32 v2, 0
	s_mov_b32 s8, exec_lo
	global_load_dwordx2 v[5:6], v2, s[6:7] offset:24 glc dlc
	s_waitcnt vmcnt(0)
	buffer_gl1_inv
	buffer_gl0_inv
	s_clause 0x1
	global_load_dwordx2 v[3:4], v2, s[6:7] offset:40
	global_load_dwordx2 v[7:8], v2, s[6:7]
	s_waitcnt vmcnt(1)
	v_and_b32_e32 v4, v4, v6
	v_and_b32_e32 v3, v3, v5
	v_mul_lo_u32 v4, v4, 24
	v_mul_hi_u32 v9, v3, 24
	v_mul_lo_u32 v3, v3, 24
	v_add_nc_u32_e32 v4, v9, v4
	s_waitcnt vmcnt(0)
	v_add_co_u32 v3, vcc_lo, v7, v3
	v_add_co_ci_u32_e64 v4, null, v8, v4, vcc_lo
	global_load_dwordx2 v[3:4], v[3:4], off glc dlc
	s_waitcnt vmcnt(0)
	global_atomic_cmpswap_x2 v[8:9], v2, v[3:6], s[6:7] offset:24 glc
	s_waitcnt vmcnt(0)
	buffer_gl1_inv
	buffer_gl0_inv
	v_cmpx_ne_u64_e64 v[8:9], v[5:6]
	s_cbranch_execz .LBB5_328
; %bb.325:
	s_mov_b32 s9, 0
	.p2align	6
.LBB5_326:                              ; =>This Inner Loop Header: Depth=1
	s_sleep 1
	s_clause 0x1
	global_load_dwordx2 v[3:4], v2, s[6:7] offset:40
	global_load_dwordx2 v[10:11], v2, s[6:7]
	v_mov_b32_e32 v5, v8
	v_mov_b32_e32 v6, v9
	s_waitcnt vmcnt(1)
	v_and_b32_e32 v3, v3, v5
	v_and_b32_e32 v4, v4, v6
	s_waitcnt vmcnt(0)
	v_mad_u64_u32 v[7:8], null, v3, 24, v[10:11]
	v_mov_b32_e32 v3, v8
	v_mad_u64_u32 v[3:4], null, v4, 24, v[3:4]
	v_mov_b32_e32 v8, v3
	global_load_dwordx2 v[3:4], v[7:8], off glc dlc
	s_waitcnt vmcnt(0)
	global_atomic_cmpswap_x2 v[8:9], v2, v[3:6], s[6:7] offset:24 glc
	s_waitcnt vmcnt(0)
	buffer_gl1_inv
	buffer_gl0_inv
	v_cmp_eq_u64_e32 vcc_lo, v[8:9], v[5:6]
	s_or_b32 s9, vcc_lo, s9
	s_andn2_b32 exec_lo, exec_lo, s9
	s_cbranch_execnz .LBB5_326
; %bb.327:
	s_or_b32 exec_lo, exec_lo, s9
.LBB5_328:
	s_or_b32 exec_lo, exec_lo, s8
.LBB5_329:
	s_or_b32 exec_lo, exec_lo, s1
	s_waitcnt vmcnt(0)
	v_mov_b32_e32 v2, 0
	v_readfirstlane_b32 s9, v9
	v_readfirstlane_b32 s8, v8
	s_mov_b32 s1, exec_lo
	s_clause 0x1
	global_load_dwordx2 v[10:11], v2, s[6:7] offset:40
	global_load_dwordx4 v[4:7], v2, s[6:7]
	s_waitcnt vmcnt(1)
	v_readfirstlane_b32 s10, v10
	v_readfirstlane_b32 s11, v11
	s_and_b64 s[10:11], s[10:11], s[8:9]
	s_mul_i32 s12, s11, 24
	s_mul_hi_u32 s13, s10, 24
	s_mul_i32 s14, s10, 24
	s_add_i32 s13, s13, s12
	s_waitcnt vmcnt(0)
	v_add_co_u32 v8, vcc_lo, v4, s14
	v_add_co_ci_u32_e64 v9, null, s13, v5, vcc_lo
	s_and_saveexec_b32 s12, s0
	s_cbranch_execz .LBB5_331
; %bb.330:
	v_mov_b32_e32 v10, s1
	v_mov_b32_e32 v11, v2
	;; [unrolled: 1-line block ×4, first 2 shown]
	global_store_dwordx4 v[8:9], v[10:13], off offset:8
.LBB5_331:
	s_or_b32 exec_lo, exec_lo, s12
	s_lshl_b64 s[10:11], s[10:11], 12
	s_mov_b32 s12, 0
	v_add_co_u32 v6, vcc_lo, v6, s10
	v_add_co_ci_u32_e64 v7, null, s11, v7, vcc_lo
	s_mov_b32 s13, s12
	v_readfirstlane_b32 s10, v6
	v_add_co_u32 v6, vcc_lo, v6, v30
	s_mov_b32 s14, s12
	s_mov_b32 s15, s12
	v_and_or_b32 v0, 0xffffff1f, v0, 32
	v_mov_b32_e32 v3, v2
	v_readfirstlane_b32 s11, v7
	v_mov_b32_e32 v10, s12
	v_add_co_ci_u32_e64 v7, null, 0, v7, vcc_lo
	v_mov_b32_e32 v11, s13
	v_mov_b32_e32 v12, s14
	;; [unrolled: 1-line block ×3, first 2 shown]
	global_store_dwordx4 v30, v[0:3], s[10:11]
	global_store_dwordx4 v30, v[10:13], s[10:11] offset:16
	global_store_dwordx4 v30, v[10:13], s[10:11] offset:32
	;; [unrolled: 1-line block ×3, first 2 shown]
	s_and_saveexec_b32 s1, s0
	s_cbranch_execz .LBB5_339
; %bb.332:
	v_mov_b32_e32 v10, 0
	v_mov_b32_e32 v11, s8
	;; [unrolled: 1-line block ×3, first 2 shown]
	s_clause 0x1
	global_load_dwordx2 v[13:14], v10, s[6:7] offset:32 glc dlc
	global_load_dwordx2 v[0:1], v10, s[6:7] offset:40
	s_waitcnt vmcnt(0)
	v_readfirstlane_b32 s10, v0
	v_readfirstlane_b32 s11, v1
	s_and_b64 s[10:11], s[10:11], s[8:9]
	s_mul_i32 s11, s11, 24
	s_mul_hi_u32 s12, s10, 24
	s_mul_i32 s10, s10, 24
	s_add_i32 s12, s12, s11
	v_add_co_u32 v4, vcc_lo, v4, s10
	v_add_co_ci_u32_e64 v5, null, s12, v5, vcc_lo
	s_mov_b32 s10, exec_lo
	global_store_dwordx2 v[4:5], v[13:14], off
	s_waitcnt_vscnt null, 0x0
	global_atomic_cmpswap_x2 v[2:3], v10, v[11:14], s[6:7] offset:32 glc
	s_waitcnt vmcnt(0)
	v_cmpx_ne_u64_e64 v[2:3], v[13:14]
	s_cbranch_execz .LBB5_335
; %bb.333:
	s_mov_b32 s11, 0
.LBB5_334:                              ; =>This Inner Loop Header: Depth=1
	v_mov_b32_e32 v0, s8
	v_mov_b32_e32 v1, s9
	s_sleep 1
	global_store_dwordx2 v[4:5], v[2:3], off
	s_waitcnt_vscnt null, 0x0
	global_atomic_cmpswap_x2 v[0:1], v10, v[0:3], s[6:7] offset:32 glc
	s_waitcnt vmcnt(0)
	v_cmp_eq_u64_e32 vcc_lo, v[0:1], v[2:3]
	v_mov_b32_e32 v3, v1
	v_mov_b32_e32 v2, v0
	s_or_b32 s11, vcc_lo, s11
	s_andn2_b32 exec_lo, exec_lo, s11
	s_cbranch_execnz .LBB5_334
.LBB5_335:
	s_or_b32 exec_lo, exec_lo, s10
	v_mov_b32_e32 v3, 0
	s_mov_b32 s11, exec_lo
	s_mov_b32 s10, exec_lo
	v_mbcnt_lo_u32_b32 v2, s11, 0
	global_load_dwordx2 v[0:1], v3, s[6:7] offset:16
	v_cmpx_eq_u32_e32 0, v2
	s_cbranch_execz .LBB5_337
; %bb.336:
	s_bcnt1_i32_b32 s11, s11
	v_mov_b32_e32 v2, s11
	s_waitcnt vmcnt(0)
	global_atomic_add_x2 v[0:1], v[2:3], off offset:8
.LBB5_337:
	s_or_b32 exec_lo, exec_lo, s10
	s_waitcnt vmcnt(0)
	global_load_dwordx2 v[2:3], v[0:1], off offset:16
	s_waitcnt vmcnt(0)
	v_cmp_eq_u64_e32 vcc_lo, 0, v[2:3]
	s_cbranch_vccnz .LBB5_339
; %bb.338:
	global_load_dword v0, v[0:1], off offset:24
	v_mov_b32_e32 v1, 0
	s_waitcnt vmcnt(0)
	v_readfirstlane_b32 s10, v0
	s_waitcnt_vscnt null, 0x0
	global_store_dwordx2 v[2:3], v[0:1], off
	s_and_b32 m0, s10, 0x7fffff
	s_sendmsg sendmsg(MSG_INTERRUPT)
.LBB5_339:
	s_or_b32 exec_lo, exec_lo, s1
	s_branch .LBB5_343
	.p2align	6
.LBB5_340:                              ;   in Loop: Header=BB5_343 Depth=1
	s_or_b32 exec_lo, exec_lo, s1
	v_readfirstlane_b32 s1, v0
	s_cmp_eq_u32 s1, 0
	s_cbranch_scc1 .LBB5_342
; %bb.341:                              ;   in Loop: Header=BB5_343 Depth=1
	s_sleep 1
	s_cbranch_execnz .LBB5_343
	s_branch .LBB5_345
	.p2align	6
.LBB5_342:
	s_branch .LBB5_345
.LBB5_343:                              ; =>This Inner Loop Header: Depth=1
	v_mov_b32_e32 v0, 1
	s_and_saveexec_b32 s1, s0
	s_cbranch_execz .LBB5_340
; %bb.344:                              ;   in Loop: Header=BB5_343 Depth=1
	global_load_dword v0, v[8:9], off offset:20 glc dlc
	s_waitcnt vmcnt(0)
	buffer_gl1_inv
	buffer_gl0_inv
	v_and_b32_e32 v0, 1, v0
	s_branch .LBB5_340
.LBB5_345:
	global_load_dwordx2 v[2:3], v[6:7], off
	s_and_saveexec_b32 s10, s0
	s_cbranch_execz .LBB5_349
; %bb.346:
	v_mov_b32_e32 v8, 0
	s_clause 0x2
	global_load_dwordx2 v[0:1], v8, s[6:7] offset:40
	global_load_dwordx2 v[11:12], v8, s[6:7] offset:24 glc dlc
	global_load_dwordx2 v[4:5], v8, s[6:7]
	s_waitcnt vmcnt(2)
	v_readfirstlane_b32 s12, v0
	v_readfirstlane_b32 s13, v1
	s_add_u32 s11, s12, 1
	s_addc_u32 s14, s13, 0
	s_add_u32 s0, s11, s8
	s_addc_u32 s1, s14, s9
	s_cmp_eq_u64 s[0:1], 0
	s_cselect_b32 s1, s14, s1
	s_cselect_b32 s0, s11, s0
	v_mov_b32_e32 v10, s1
	s_and_b64 s[8:9], s[0:1], s[12:13]
	v_mov_b32_e32 v9, s0
	s_mul_i32 s9, s9, 24
	s_mul_hi_u32 s11, s8, 24
	s_mul_i32 s8, s8, 24
	s_add_i32 s11, s11, s9
	s_waitcnt vmcnt(0)
	v_add_co_u32 v0, vcc_lo, v4, s8
	v_add_co_ci_u32_e64 v1, null, s11, v5, vcc_lo
	global_store_dwordx2 v[0:1], v[11:12], off
	s_waitcnt_vscnt null, 0x0
	global_atomic_cmpswap_x2 v[6:7], v8, v[9:12], s[6:7] offset:24 glc
	s_waitcnt vmcnt(0)
	v_cmp_ne_u64_e32 vcc_lo, v[6:7], v[11:12]
	s_and_b32 exec_lo, exec_lo, vcc_lo
	s_cbranch_execz .LBB5_349
; %bb.347:
	s_mov_b32 s8, 0
.LBB5_348:                              ; =>This Inner Loop Header: Depth=1
	v_mov_b32_e32 v4, s0
	v_mov_b32_e32 v5, s1
	s_sleep 1
	global_store_dwordx2 v[0:1], v[6:7], off
	s_waitcnt_vscnt null, 0x0
	global_atomic_cmpswap_x2 v[4:5], v8, v[4:7], s[6:7] offset:24 glc
	s_waitcnt vmcnt(0)
	v_cmp_eq_u64_e32 vcc_lo, v[4:5], v[6:7]
	v_mov_b32_e32 v7, v5
	v_mov_b32_e32 v6, v4
	s_or_b32 s8, vcc_lo, s8
	s_andn2_b32 exec_lo, exec_lo, s8
	s_cbranch_execnz .LBB5_348
.LBB5_349:
	s_or_b32 exec_lo, exec_lo, s10
.LBB5_350:
	v_readfirstlane_b32 s0, v31
	s_waitcnt vmcnt(0)
	v_mov_b32_e32 v0, 0
	v_mov_b32_e32 v1, 0
	v_cmp_eq_u32_e64 s0, s0, v31
	s_and_saveexec_b32 s1, s0
	s_cbranch_execz .LBB5_356
; %bb.351:
	v_mov_b32_e32 v4, 0
	s_mov_b32 s8, exec_lo
	global_load_dwordx2 v[7:8], v4, s[6:7] offset:24 glc dlc
	s_waitcnt vmcnt(0)
	buffer_gl1_inv
	buffer_gl0_inv
	s_clause 0x1
	global_load_dwordx2 v[0:1], v4, s[6:7] offset:40
	global_load_dwordx2 v[5:6], v4, s[6:7]
	s_waitcnt vmcnt(1)
	v_and_b32_e32 v1, v1, v8
	v_and_b32_e32 v0, v0, v7
	v_mul_lo_u32 v1, v1, 24
	v_mul_hi_u32 v9, v0, 24
	v_mul_lo_u32 v0, v0, 24
	v_add_nc_u32_e32 v1, v9, v1
	s_waitcnt vmcnt(0)
	v_add_co_u32 v0, vcc_lo, v5, v0
	v_add_co_ci_u32_e64 v1, null, v6, v1, vcc_lo
	global_load_dwordx2 v[5:6], v[0:1], off glc dlc
	s_waitcnt vmcnt(0)
	global_atomic_cmpswap_x2 v[0:1], v4, v[5:8], s[6:7] offset:24 glc
	s_waitcnt vmcnt(0)
	buffer_gl1_inv
	buffer_gl0_inv
	v_cmpx_ne_u64_e64 v[0:1], v[7:8]
	s_cbranch_execz .LBB5_355
; %bb.352:
	s_mov_b32 s9, 0
	.p2align	6
.LBB5_353:                              ; =>This Inner Loop Header: Depth=1
	s_sleep 1
	s_clause 0x1
	global_load_dwordx2 v[5:6], v4, s[6:7] offset:40
	global_load_dwordx2 v[9:10], v4, s[6:7]
	v_mov_b32_e32 v8, v1
	v_mov_b32_e32 v7, v0
	s_waitcnt vmcnt(1)
	v_and_b32_e32 v0, v5, v7
	v_and_b32_e32 v5, v6, v8
	s_waitcnt vmcnt(0)
	v_mad_u64_u32 v[0:1], null, v0, 24, v[9:10]
	v_mad_u64_u32 v[5:6], null, v5, 24, v[1:2]
	v_mov_b32_e32 v1, v5
	global_load_dwordx2 v[5:6], v[0:1], off glc dlc
	s_waitcnt vmcnt(0)
	global_atomic_cmpswap_x2 v[0:1], v4, v[5:8], s[6:7] offset:24 glc
	s_waitcnt vmcnt(0)
	buffer_gl1_inv
	buffer_gl0_inv
	v_cmp_eq_u64_e32 vcc_lo, v[0:1], v[7:8]
	s_or_b32 s9, vcc_lo, s9
	s_andn2_b32 exec_lo, exec_lo, s9
	s_cbranch_execnz .LBB5_353
; %bb.354:
	s_or_b32 exec_lo, exec_lo, s9
.LBB5_355:
	s_or_b32 exec_lo, exec_lo, s8
.LBB5_356:
	s_or_b32 exec_lo, exec_lo, s1
	v_mov_b32_e32 v5, 0
	v_readfirstlane_b32 s9, v1
	v_readfirstlane_b32 s8, v0
	s_mov_b32 s1, exec_lo
	s_clause 0x1
	global_load_dwordx2 v[10:11], v5, s[6:7] offset:40
	global_load_dwordx4 v[6:9], v5, s[6:7]
	s_waitcnt vmcnt(1)
	v_readfirstlane_b32 s10, v10
	v_readfirstlane_b32 s11, v11
	s_and_b64 s[10:11], s[10:11], s[8:9]
	s_mul_i32 s12, s11, 24
	s_mul_hi_u32 s13, s10, 24
	s_mul_i32 s14, s10, 24
	s_add_i32 s13, s13, s12
	s_waitcnt vmcnt(0)
	v_add_co_u32 v10, vcc_lo, v6, s14
	v_add_co_ci_u32_e64 v11, null, s13, v7, vcc_lo
	s_and_saveexec_b32 s12, s0
	s_cbranch_execz .LBB5_358
; %bb.357:
	v_mov_b32_e32 v4, s1
	v_mov_b32_e32 v13, v5
	;; [unrolled: 1-line block ×5, first 2 shown]
	global_store_dwordx4 v[10:11], v[12:15], off offset:8
.LBB5_358:
	s_or_b32 exec_lo, exec_lo, s12
	s_lshl_b64 s[10:11], s[10:11], 12
	s_mov_b32 s12, 0
	v_add_co_u32 v0, vcc_lo, v8, s10
	v_add_co_ci_u32_e64 v1, null, s11, v9, vcc_lo
	s_lshr_b32 s1, s20, 4
	v_add_co_u32 v8, vcc_lo, v0, v30
	s_mov_b32 s13, s12
	s_mov_b32 s14, s12
	;; [unrolled: 1-line block ×3, first 2 shown]
	v_and_or_b32 v2, 0xffffff1f, v2, 32
	v_mov_b32_e32 v4, s1
	v_readfirstlane_b32 s10, v0
	v_readfirstlane_b32 s11, v1
	v_mov_b32_e32 v12, s12
	v_add_co_ci_u32_e64 v9, null, 0, v1, vcc_lo
	v_mov_b32_e32 v13, s13
	v_mov_b32_e32 v14, s14
	;; [unrolled: 1-line block ×3, first 2 shown]
	global_store_dwordx4 v30, v[2:5], s[10:11]
	global_store_dwordx4 v30, v[12:15], s[10:11] offset:16
	global_store_dwordx4 v30, v[12:15], s[10:11] offset:32
	;; [unrolled: 1-line block ×3, first 2 shown]
	s_and_saveexec_b32 s1, s0
	s_cbranch_execz .LBB5_366
; %bb.359:
	v_mov_b32_e32 v12, 0
	v_mov_b32_e32 v13, s8
	v_mov_b32_e32 v14, s9
	s_clause 0x1
	global_load_dwordx2 v[15:16], v12, s[6:7] offset:32 glc dlc
	global_load_dwordx2 v[0:1], v12, s[6:7] offset:40
	s_waitcnt vmcnt(0)
	v_readfirstlane_b32 s10, v0
	v_readfirstlane_b32 s11, v1
	s_and_b64 s[10:11], s[10:11], s[8:9]
	s_mul_i32 s11, s11, 24
	s_mul_hi_u32 s12, s10, 24
	s_mul_i32 s10, s10, 24
	s_add_i32 s12, s12, s11
	v_add_co_u32 v4, vcc_lo, v6, s10
	v_add_co_ci_u32_e64 v5, null, s12, v7, vcc_lo
	s_mov_b32 s10, exec_lo
	global_store_dwordx2 v[4:5], v[15:16], off
	s_waitcnt_vscnt null, 0x0
	global_atomic_cmpswap_x2 v[2:3], v12, v[13:16], s[6:7] offset:32 glc
	s_waitcnt vmcnt(0)
	v_cmpx_ne_u64_e64 v[2:3], v[15:16]
	s_cbranch_execz .LBB5_362
; %bb.360:
	s_mov_b32 s11, 0
.LBB5_361:                              ; =>This Inner Loop Header: Depth=1
	v_mov_b32_e32 v0, s8
	v_mov_b32_e32 v1, s9
	s_sleep 1
	global_store_dwordx2 v[4:5], v[2:3], off
	s_waitcnt_vscnt null, 0x0
	global_atomic_cmpswap_x2 v[0:1], v12, v[0:3], s[6:7] offset:32 glc
	s_waitcnt vmcnt(0)
	v_cmp_eq_u64_e32 vcc_lo, v[0:1], v[2:3]
	v_mov_b32_e32 v3, v1
	v_mov_b32_e32 v2, v0
	s_or_b32 s11, vcc_lo, s11
	s_andn2_b32 exec_lo, exec_lo, s11
	s_cbranch_execnz .LBB5_361
.LBB5_362:
	s_or_b32 exec_lo, exec_lo, s10
	v_mov_b32_e32 v3, 0
	s_mov_b32 s11, exec_lo
	s_mov_b32 s10, exec_lo
	v_mbcnt_lo_u32_b32 v2, s11, 0
	global_load_dwordx2 v[0:1], v3, s[6:7] offset:16
	v_cmpx_eq_u32_e32 0, v2
	s_cbranch_execz .LBB5_364
; %bb.363:
	s_bcnt1_i32_b32 s11, s11
	v_mov_b32_e32 v2, s11
	s_waitcnt vmcnt(0)
	global_atomic_add_x2 v[0:1], v[2:3], off offset:8
.LBB5_364:
	s_or_b32 exec_lo, exec_lo, s10
	s_waitcnt vmcnt(0)
	global_load_dwordx2 v[2:3], v[0:1], off offset:16
	s_waitcnt vmcnt(0)
	v_cmp_eq_u64_e32 vcc_lo, 0, v[2:3]
	s_cbranch_vccnz .LBB5_366
; %bb.365:
	global_load_dword v0, v[0:1], off offset:24
	v_mov_b32_e32 v1, 0
	s_waitcnt vmcnt(0)
	v_readfirstlane_b32 s10, v0
	s_waitcnt_vscnt null, 0x0
	global_store_dwordx2 v[2:3], v[0:1], off
	s_and_b32 m0, s10, 0x7fffff
	s_sendmsg sendmsg(MSG_INTERRUPT)
.LBB5_366:
	s_or_b32 exec_lo, exec_lo, s1
	s_branch .LBB5_370
	.p2align	6
.LBB5_367:                              ;   in Loop: Header=BB5_370 Depth=1
	s_or_b32 exec_lo, exec_lo, s1
	v_readfirstlane_b32 s1, v0
	s_cmp_eq_u32 s1, 0
	s_cbranch_scc1 .LBB5_369
; %bb.368:                              ;   in Loop: Header=BB5_370 Depth=1
	s_sleep 1
	s_cbranch_execnz .LBB5_370
	s_branch .LBB5_372
	.p2align	6
.LBB5_369:
	s_branch .LBB5_372
.LBB5_370:                              ; =>This Inner Loop Header: Depth=1
	v_mov_b32_e32 v0, 1
	s_and_saveexec_b32 s1, s0
	s_cbranch_execz .LBB5_367
; %bb.371:                              ;   in Loop: Header=BB5_370 Depth=1
	global_load_dword v0, v[10:11], off offset:20 glc dlc
	s_waitcnt vmcnt(0)
	buffer_gl1_inv
	buffer_gl0_inv
	v_and_b32_e32 v0, 1, v0
	s_branch .LBB5_367
.LBB5_372:
	global_load_dwordx2 v[0:1], v[8:9], off
	s_and_saveexec_b32 s10, s0
	s_cbranch_execz .LBB5_376
; %bb.373:
	v_mov_b32_e32 v8, 0
	s_clause 0x2
	global_load_dwordx2 v[2:3], v8, s[6:7] offset:40
	global_load_dwordx2 v[11:12], v8, s[6:7] offset:24 glc dlc
	global_load_dwordx2 v[4:5], v8, s[6:7]
	s_waitcnt vmcnt(2)
	v_readfirstlane_b32 s12, v2
	v_readfirstlane_b32 s13, v3
	s_add_u32 s11, s12, 1
	s_addc_u32 s14, s13, 0
	s_add_u32 s0, s11, s8
	s_addc_u32 s1, s14, s9
	s_cmp_eq_u64 s[0:1], 0
	s_cselect_b32 s1, s14, s1
	s_cselect_b32 s0, s11, s0
	v_mov_b32_e32 v10, s1
	s_and_b64 s[8:9], s[0:1], s[12:13]
	v_mov_b32_e32 v9, s0
	s_mul_i32 s9, s9, 24
	s_mul_hi_u32 s11, s8, 24
	s_mul_i32 s8, s8, 24
	s_add_i32 s11, s11, s9
	s_waitcnt vmcnt(0)
	v_add_co_u32 v6, vcc_lo, v4, s8
	v_add_co_ci_u32_e64 v7, null, s11, v5, vcc_lo
	global_store_dwordx2 v[6:7], v[11:12], off
	s_waitcnt_vscnt null, 0x0
	global_atomic_cmpswap_x2 v[4:5], v8, v[9:12], s[6:7] offset:24 glc
	s_waitcnt vmcnt(0)
	v_cmp_ne_u64_e32 vcc_lo, v[4:5], v[11:12]
	s_and_b32 exec_lo, exec_lo, vcc_lo
	s_cbranch_execz .LBB5_376
; %bb.374:
	s_mov_b32 s8, 0
.LBB5_375:                              ; =>This Inner Loop Header: Depth=1
	v_mov_b32_e32 v2, s0
	v_mov_b32_e32 v3, s1
	s_sleep 1
	global_store_dwordx2 v[6:7], v[4:5], off
	s_waitcnt_vscnt null, 0x0
	global_atomic_cmpswap_x2 v[2:3], v8, v[2:5], s[6:7] offset:24 glc
	s_waitcnt vmcnt(0)
	v_cmp_eq_u64_e32 vcc_lo, v[2:3], v[4:5]
	v_mov_b32_e32 v5, v3
	v_mov_b32_e32 v4, v2
	s_or_b32 s8, vcc_lo, s8
	s_andn2_b32 exec_lo, exec_lo, s8
	s_cbranch_execnz .LBB5_375
.LBB5_376:
	s_or_b32 exec_lo, exec_lo, s10
	v_readfirstlane_b32 s0, v31
	v_mov_b32_e32 v8, 0
	v_mov_b32_e32 v9, 0
	v_cmp_eq_u32_e64 s0, s0, v31
	s_and_saveexec_b32 s1, s0
	s_cbranch_execz .LBB5_382
; %bb.377:
	v_mov_b32_e32 v2, 0
	s_mov_b32 s8, exec_lo
	global_load_dwordx2 v[5:6], v2, s[6:7] offset:24 glc dlc
	s_waitcnt vmcnt(0)
	buffer_gl1_inv
	buffer_gl0_inv
	s_clause 0x1
	global_load_dwordx2 v[3:4], v2, s[6:7] offset:40
	global_load_dwordx2 v[7:8], v2, s[6:7]
	s_waitcnt vmcnt(1)
	v_and_b32_e32 v4, v4, v6
	v_and_b32_e32 v3, v3, v5
	v_mul_lo_u32 v4, v4, 24
	v_mul_hi_u32 v9, v3, 24
	v_mul_lo_u32 v3, v3, 24
	v_add_nc_u32_e32 v4, v9, v4
	s_waitcnt vmcnt(0)
	v_add_co_u32 v3, vcc_lo, v7, v3
	v_add_co_ci_u32_e64 v4, null, v8, v4, vcc_lo
	global_load_dwordx2 v[3:4], v[3:4], off glc dlc
	s_waitcnt vmcnt(0)
	global_atomic_cmpswap_x2 v[8:9], v2, v[3:6], s[6:7] offset:24 glc
	s_waitcnt vmcnt(0)
	buffer_gl1_inv
	buffer_gl0_inv
	v_cmpx_ne_u64_e64 v[8:9], v[5:6]
	s_cbranch_execz .LBB5_381
; %bb.378:
	s_mov_b32 s9, 0
	.p2align	6
.LBB5_379:                              ; =>This Inner Loop Header: Depth=1
	s_sleep 1
	s_clause 0x1
	global_load_dwordx2 v[3:4], v2, s[6:7] offset:40
	global_load_dwordx2 v[10:11], v2, s[6:7]
	v_mov_b32_e32 v5, v8
	v_mov_b32_e32 v6, v9
	s_waitcnt vmcnt(1)
	v_and_b32_e32 v3, v3, v5
	v_and_b32_e32 v4, v4, v6
	s_waitcnt vmcnt(0)
	v_mad_u64_u32 v[7:8], null, v3, 24, v[10:11]
	v_mov_b32_e32 v3, v8
	v_mad_u64_u32 v[3:4], null, v4, 24, v[3:4]
	v_mov_b32_e32 v8, v3
	global_load_dwordx2 v[3:4], v[7:8], off glc dlc
	s_waitcnt vmcnt(0)
	global_atomic_cmpswap_x2 v[8:9], v2, v[3:6], s[6:7] offset:24 glc
	s_waitcnt vmcnt(0)
	buffer_gl1_inv
	buffer_gl0_inv
	v_cmp_eq_u64_e32 vcc_lo, v[8:9], v[5:6]
	s_or_b32 s9, vcc_lo, s9
	s_andn2_b32 exec_lo, exec_lo, s9
	s_cbranch_execnz .LBB5_379
; %bb.380:
	s_or_b32 exec_lo, exec_lo, s9
.LBB5_381:
	s_or_b32 exec_lo, exec_lo, s8
.LBB5_382:
	s_or_b32 exec_lo, exec_lo, s1
	v_mov_b32_e32 v3, 0
	v_readfirstlane_b32 s9, v9
	v_readfirstlane_b32 s8, v8
	s_mov_b32 s1, exec_lo
	s_clause 0x1
	global_load_dwordx2 v[10:11], v3, s[6:7] offset:40
	global_load_dwordx4 v[4:7], v3, s[6:7]
	s_waitcnt vmcnt(1)
	v_readfirstlane_b32 s10, v10
	v_readfirstlane_b32 s11, v11
	s_and_b64 s[10:11], s[10:11], s[8:9]
	s_mul_i32 s12, s11, 24
	s_mul_hi_u32 s13, s10, 24
	s_mul_i32 s14, s10, 24
	s_add_i32 s13, s13, s12
	s_waitcnt vmcnt(0)
	v_add_co_u32 v8, vcc_lo, v4, s14
	v_add_co_ci_u32_e64 v9, null, s13, v5, vcc_lo
	s_and_saveexec_b32 s12, s0
	s_cbranch_execz .LBB5_384
; %bb.383:
	v_mov_b32_e32 v2, s1
	v_mov_b32_e32 v11, v3
	;; [unrolled: 1-line block ×5, first 2 shown]
	global_store_dwordx4 v[8:9], v[10:13], off offset:8
.LBB5_384:
	s_or_b32 exec_lo, exec_lo, s12
	s_lshl_b64 s[10:11], s[10:11], 12
	s_mov_b32 s12, 0
	v_add_co_u32 v6, vcc_lo, v6, s10
	v_add_co_ci_u32_e64 v7, null, s11, v7, vcc_lo
	s_mov_b32 s13, s12
	s_mov_b32 s14, s12
	;; [unrolled: 1-line block ×3, first 2 shown]
	v_and_or_b32 v0, 0xffffff1d, v0, 34
	v_mov_b32_e32 v2, 16
	v_readfirstlane_b32 s10, v6
	v_readfirstlane_b32 s11, v7
	v_mov_b32_e32 v10, s12
	v_mov_b32_e32 v11, s13
	;; [unrolled: 1-line block ×4, first 2 shown]
	global_store_dwordx4 v30, v[0:3], s[10:11]
	global_store_dwordx4 v30, v[10:13], s[10:11] offset:16
	global_store_dwordx4 v30, v[10:13], s[10:11] offset:32
	;; [unrolled: 1-line block ×3, first 2 shown]
	s_and_saveexec_b32 s1, s0
	s_cbranch_execz .LBB5_392
; %bb.385:
	v_mov_b32_e32 v6, 0
	v_mov_b32_e32 v10, s8
	;; [unrolled: 1-line block ×3, first 2 shown]
	s_clause 0x1
	global_load_dwordx2 v[12:13], v6, s[6:7] offset:32 glc dlc
	global_load_dwordx2 v[0:1], v6, s[6:7] offset:40
	s_waitcnt vmcnt(0)
	v_readfirstlane_b32 s10, v0
	v_readfirstlane_b32 s11, v1
	s_and_b64 s[10:11], s[10:11], s[8:9]
	s_mul_i32 s11, s11, 24
	s_mul_hi_u32 s12, s10, 24
	s_mul_i32 s10, s10, 24
	s_add_i32 s12, s12, s11
	v_add_co_u32 v4, vcc_lo, v4, s10
	v_add_co_ci_u32_e64 v5, null, s12, v5, vcc_lo
	s_mov_b32 s10, exec_lo
	global_store_dwordx2 v[4:5], v[12:13], off
	s_waitcnt_vscnt null, 0x0
	global_atomic_cmpswap_x2 v[2:3], v6, v[10:13], s[6:7] offset:32 glc
	s_waitcnt vmcnt(0)
	v_cmpx_ne_u64_e64 v[2:3], v[12:13]
	s_cbranch_execz .LBB5_388
; %bb.386:
	s_mov_b32 s11, 0
.LBB5_387:                              ; =>This Inner Loop Header: Depth=1
	v_mov_b32_e32 v0, s8
	v_mov_b32_e32 v1, s9
	s_sleep 1
	global_store_dwordx2 v[4:5], v[2:3], off
	s_waitcnt_vscnt null, 0x0
	global_atomic_cmpswap_x2 v[0:1], v6, v[0:3], s[6:7] offset:32 glc
	s_waitcnt vmcnt(0)
	v_cmp_eq_u64_e32 vcc_lo, v[0:1], v[2:3]
	v_mov_b32_e32 v3, v1
	v_mov_b32_e32 v2, v0
	s_or_b32 s11, vcc_lo, s11
	s_andn2_b32 exec_lo, exec_lo, s11
	s_cbranch_execnz .LBB5_387
.LBB5_388:
	s_or_b32 exec_lo, exec_lo, s10
	v_mov_b32_e32 v3, 0
	s_mov_b32 s11, exec_lo
	s_mov_b32 s10, exec_lo
	v_mbcnt_lo_u32_b32 v2, s11, 0
	global_load_dwordx2 v[0:1], v3, s[6:7] offset:16
	v_cmpx_eq_u32_e32 0, v2
	s_cbranch_execz .LBB5_390
; %bb.389:
	s_bcnt1_i32_b32 s11, s11
	v_mov_b32_e32 v2, s11
	s_waitcnt vmcnt(0)
	global_atomic_add_x2 v[0:1], v[2:3], off offset:8
.LBB5_390:
	s_or_b32 exec_lo, exec_lo, s10
	s_waitcnt vmcnt(0)
	global_load_dwordx2 v[2:3], v[0:1], off offset:16
	s_waitcnt vmcnt(0)
	v_cmp_eq_u64_e32 vcc_lo, 0, v[2:3]
	s_cbranch_vccnz .LBB5_392
; %bb.391:
	global_load_dword v0, v[0:1], off offset:24
	v_mov_b32_e32 v1, 0
	s_waitcnt vmcnt(0)
	v_readfirstlane_b32 s10, v0
	s_waitcnt_vscnt null, 0x0
	global_store_dwordx2 v[2:3], v[0:1], off
	s_and_b32 m0, s10, 0x7fffff
	s_sendmsg sendmsg(MSG_INTERRUPT)
.LBB5_392:
	s_or_b32 exec_lo, exec_lo, s1
	s_branch .LBB5_396
	.p2align	6
.LBB5_393:                              ;   in Loop: Header=BB5_396 Depth=1
	s_or_b32 exec_lo, exec_lo, s1
	v_readfirstlane_b32 s1, v0
	s_cmp_eq_u32 s1, 0
	s_cbranch_scc1 .LBB5_395
; %bb.394:                              ;   in Loop: Header=BB5_396 Depth=1
	s_sleep 1
	s_cbranch_execnz .LBB5_396
	s_branch .LBB5_398
	.p2align	6
.LBB5_395:
	s_branch .LBB5_398
.LBB5_396:                              ; =>This Inner Loop Header: Depth=1
	v_mov_b32_e32 v0, 1
	s_and_saveexec_b32 s1, s0
	s_cbranch_execz .LBB5_393
; %bb.397:                              ;   in Loop: Header=BB5_396 Depth=1
	global_load_dword v0, v[8:9], off offset:20 glc dlc
	s_waitcnt vmcnt(0)
	buffer_gl1_inv
	buffer_gl0_inv
	v_and_b32_e32 v0, 1, v0
	s_branch .LBB5_393
.LBB5_398:
	s_and_b32 exec_lo, exec_lo, s0
	s_cbranch_execz .LBB5_402
; %bb.399:
	v_mov_b32_e32 v6, 0
	s_clause 0x2
	global_load_dwordx2 v[0:1], v6, s[6:7] offset:40
	global_load_dwordx2 v[9:10], v6, s[6:7] offset:24 glc dlc
	global_load_dwordx2 v[2:3], v6, s[6:7]
	s_waitcnt vmcnt(2)
	v_readfirstlane_b32 s10, v0
	v_readfirstlane_b32 s11, v1
	s_add_u32 s12, s10, 1
	s_addc_u32 s13, s11, 0
	s_add_u32 s0, s12, s8
	s_addc_u32 s1, s13, s9
	s_cmp_eq_u64 s[0:1], 0
	s_cselect_b32 s1, s13, s1
	s_cselect_b32 s0, s12, s0
	v_mov_b32_e32 v8, s1
	s_and_b64 s[8:9], s[0:1], s[10:11]
	v_mov_b32_e32 v7, s0
	s_mul_i32 s9, s9, 24
	s_mul_hi_u32 s10, s8, 24
	s_mul_i32 s8, s8, 24
	s_add_i32 s10, s10, s9
	s_waitcnt vmcnt(0)
	v_add_co_u32 v4, vcc_lo, v2, s8
	v_add_co_ci_u32_e64 v5, null, s10, v3, vcc_lo
	global_store_dwordx2 v[4:5], v[9:10], off
	s_waitcnt_vscnt null, 0x0
	global_atomic_cmpswap_x2 v[2:3], v6, v[7:10], s[6:7] offset:24 glc
	s_waitcnt vmcnt(0)
	v_cmp_ne_u64_e32 vcc_lo, v[2:3], v[9:10]
	s_and_b32 exec_lo, exec_lo, vcc_lo
	s_cbranch_execz .LBB5_402
; %bb.400:
	s_mov_b32 s8, 0
.LBB5_401:                              ; =>This Inner Loop Header: Depth=1
	v_mov_b32_e32 v0, s0
	v_mov_b32_e32 v1, s1
	s_sleep 1
	global_store_dwordx2 v[4:5], v[2:3], off
	s_waitcnt_vscnt null, 0x0
	global_atomic_cmpswap_x2 v[0:1], v6, v[0:3], s[6:7] offset:24 glc
	s_waitcnt vmcnt(0)
	v_cmp_eq_u64_e32 vcc_lo, v[0:1], v[2:3]
	v_mov_b32_e32 v3, v1
	v_mov_b32_e32 v2, v0
	s_or_b32 s8, vcc_lo, s8
	s_andn2_b32 exec_lo, exec_lo, s8
	s_cbranch_execnz .LBB5_401
.LBB5_402:
	s_or_b32 exec_lo, exec_lo, s23
	v_and_b32_e32 v0, -16, v26
	v_and_b32_e32 v4, 15, v26
	s_mov_b32 s0, exec_lo
	s_waitcnt lgkmcnt(0)
	s_waitcnt_vscnt null, 0x0
	s_barrier
	v_ashrrev_i32_e32 v1, 31, v0
	v_lshlrev_b32_e32 v2, 2, v4
	buffer_gl0_inv
	v_lshlrev_b64 v[0:1], 2, v[0:1]
	v_add_co_u32 v0, vcc_lo, s22, v0
	v_add_co_ci_u32_e64 v1, null, s21, v1, vcc_lo
	v_add_co_u32 v2, vcc_lo, v0, v2
	v_add_co_ci_u32_e64 v3, null, 0, v1, vcc_lo
	flat_store_dword v[2:3], v26
	s_waitcnt lgkmcnt(0)
	s_waitcnt_vscnt null, 0x0
	buffer_gl1_inv
	buffer_gl0_inv
	v_cmpx_gt_u32_e32 8, v4
	s_cbranch_execz .LBB5_404
; %bb.403:
	flat_load_dword v5, v[2:3] offset:32
	s_waitcnt vmcnt(0) lgkmcnt(0)
	v_add_nc_u32_e32 v29, v5, v26
.LBB5_404:
	s_or_b32 exec_lo, exec_lo, s0
	s_mov_b32 s0, exec_lo
	buffer_gl1_inv
	buffer_gl0_inv
	flat_store_dword v[2:3], v29
	s_waitcnt lgkmcnt(0)
	s_waitcnt_vscnt null, 0x0
	buffer_gl1_inv
	buffer_gl0_inv
	v_cmpx_gt_u32_e32 4, v4
	s_cbranch_execz .LBB5_406
; %bb.405:
	flat_load_dword v5, v[2:3] offset:16
	s_waitcnt vmcnt(0) lgkmcnt(0)
	v_add_nc_u32_e32 v29, v5, v29
.LBB5_406:
	s_or_b32 exec_lo, exec_lo, s0
	s_mov_b32 s0, exec_lo
	buffer_gl1_inv
	buffer_gl0_inv
	flat_store_dword v[2:3], v29
	s_waitcnt lgkmcnt(0)
	s_waitcnt_vscnt null, 0x0
	buffer_gl1_inv
	buffer_gl0_inv
	v_cmpx_gt_u32_e32 2, v4
	s_cbranch_execz .LBB5_408
; %bb.407:
	flat_load_dword v5, v[2:3] offset:8
	s_waitcnt vmcnt(0) lgkmcnt(0)
	v_add_nc_u32_e32 v29, v5, v29
.LBB5_408:
	s_or_b32 exec_lo, exec_lo, s0
	v_cmp_eq_u32_e64 s0, 0, v4
	buffer_gl1_inv
	buffer_gl0_inv
	flat_store_dword v[2:3], v29
	s_waitcnt lgkmcnt(0)
	s_waitcnt_vscnt null, 0x0
	buffer_gl1_inv
	buffer_gl0_inv
	s_and_saveexec_b32 s1, s0
	s_cbranch_execnz .LBB5_411
; %bb.409:
	s_or_b32 exec_lo, exec_lo, s1
	buffer_gl1_inv
	buffer_gl0_inv
	s_and_saveexec_b32 s1, s0
	s_cbranch_execnz .LBB5_412
.LBB5_410:
	s_endpgm
.LBB5_411:
	flat_load_dword v0, v[0:1] offset:4
	s_waitcnt vmcnt(0) lgkmcnt(0)
	v_add_nc_u32_e32 v29, v0, v29
	s_or_b32 exec_lo, exec_lo, s1
	buffer_gl1_inv
	buffer_gl0_inv
	s_and_saveexec_b32 s1, s0
	s_cbranch_execz .LBB5_410
.LBB5_412:
	s_load_dwordx2 s[2:3], s[2:3], 0x50
	v_mbcnt_lo_u32_b32 v31, -1, 0
	v_mov_b32_e32 v6, 0
	v_mov_b32_e32 v7, 0
	v_readfirstlane_b32 s1, v31
	v_cmp_eq_u32_e64 s1, s1, v31
	s_and_saveexec_b32 s6, s1
	s_cbranch_execz .LBB5_418
; %bb.413:
	v_mov_b32_e32 v0, 0
	s_mov_b32 s7, exec_lo
	s_waitcnt lgkmcnt(0)
	global_load_dwordx2 v[3:4], v0, s[2:3] offset:24 glc dlc
	s_waitcnt vmcnt(0)
	buffer_gl1_inv
	buffer_gl0_inv
	s_clause 0x1
	global_load_dwordx2 v[1:2], v0, s[2:3] offset:40
	global_load_dwordx2 v[5:6], v0, s[2:3]
	s_waitcnt vmcnt(1)
	v_and_b32_e32 v2, v2, v4
	v_and_b32_e32 v1, v1, v3
	v_mul_lo_u32 v2, v2, 24
	v_mul_hi_u32 v7, v1, 24
	v_mul_lo_u32 v1, v1, 24
	v_add_nc_u32_e32 v2, v7, v2
	s_waitcnt vmcnt(0)
	v_add_co_u32 v1, vcc_lo, v5, v1
	v_add_co_ci_u32_e64 v2, null, v6, v2, vcc_lo
	global_load_dwordx2 v[1:2], v[1:2], off glc dlc
	s_waitcnt vmcnt(0)
	global_atomic_cmpswap_x2 v[6:7], v0, v[1:4], s[2:3] offset:24 glc
	s_waitcnt vmcnt(0)
	buffer_gl1_inv
	buffer_gl0_inv
	v_cmpx_ne_u64_e64 v[6:7], v[3:4]
	s_cbranch_execz .LBB5_417
; %bb.414:
	s_mov_b32 s8, 0
	.p2align	6
.LBB5_415:                              ; =>This Inner Loop Header: Depth=1
	s_sleep 1
	s_clause 0x1
	global_load_dwordx2 v[1:2], v0, s[2:3] offset:40
	global_load_dwordx2 v[8:9], v0, s[2:3]
	v_mov_b32_e32 v3, v6
	v_mov_b32_e32 v4, v7
	s_waitcnt vmcnt(1)
	v_and_b32_e32 v1, v1, v3
	v_and_b32_e32 v2, v2, v4
	s_waitcnt vmcnt(0)
	v_mad_u64_u32 v[5:6], null, v1, 24, v[8:9]
	v_mov_b32_e32 v1, v6
	v_mad_u64_u32 v[1:2], null, v2, 24, v[1:2]
	v_mov_b32_e32 v6, v1
	global_load_dwordx2 v[1:2], v[5:6], off glc dlc
	s_waitcnt vmcnt(0)
	global_atomic_cmpswap_x2 v[6:7], v0, v[1:4], s[2:3] offset:24 glc
	s_waitcnt vmcnt(0)
	buffer_gl1_inv
	buffer_gl0_inv
	v_cmp_eq_u64_e32 vcc_lo, v[6:7], v[3:4]
	s_or_b32 s8, vcc_lo, s8
	s_andn2_b32 exec_lo, exec_lo, s8
	s_cbranch_execnz .LBB5_415
; %bb.416:
	s_or_b32 exec_lo, exec_lo, s8
.LBB5_417:
	s_or_b32 exec_lo, exec_lo, s7
.LBB5_418:
	s_or_b32 exec_lo, exec_lo, s6
	v_mov_b32_e32 v5, 0
	v_readfirstlane_b32 s7, v7
	v_readfirstlane_b32 s6, v6
	s_mov_b32 s10, exec_lo
	s_waitcnt lgkmcnt(0)
	s_clause 0x1
	global_load_dwordx2 v[8:9], v5, s[2:3] offset:40
	global_load_dwordx4 v[0:3], v5, s[2:3]
	s_waitcnt vmcnt(1)
	v_readfirstlane_b32 s8, v8
	v_readfirstlane_b32 s9, v9
	s_and_b64 s[8:9], s[8:9], s[6:7]
	s_mul_i32 s11, s9, 24
	s_mul_hi_u32 s12, s8, 24
	s_mul_i32 s13, s8, 24
	s_add_i32 s12, s12, s11
	s_waitcnt vmcnt(0)
	v_add_co_u32 v8, vcc_lo, v0, s13
	v_add_co_ci_u32_e64 v9, null, s12, v1, vcc_lo
	s_and_saveexec_b32 s11, s1
	s_cbranch_execz .LBB5_420
; %bb.419:
	v_mov_b32_e32 v4, s10
	v_mov_b32_e32 v6, 2
	;; [unrolled: 1-line block ×3, first 2 shown]
	global_store_dwordx4 v[8:9], v[4:7], off offset:8
.LBB5_420:
	s_or_b32 exec_lo, exec_lo, s11
	s_lshl_b64 s[8:9], s[8:9], 12
	v_lshlrev_b32_e32 v30, 6, v31
	v_add_co_u32 v2, vcc_lo, v2, s8
	v_add_co_ci_u32_e64 v3, null, s9, v3, vcc_lo
	s_mov_b32 s8, 0
	v_add_co_u32 v10, vcc_lo, v2, v30
	s_mov_b32 s11, s8
	s_mov_b32 s9, s8
	;; [unrolled: 1-line block ×3, first 2 shown]
	v_mov_b32_e32 v4, 33
	v_mov_b32_e32 v6, v5
	;; [unrolled: 1-line block ×3, first 2 shown]
	v_readfirstlane_b32 s12, v2
	v_readfirstlane_b32 s13, v3
	v_mov_b32_e32 v15, s11
	v_add_co_ci_u32_e64 v11, null, 0, v3, vcc_lo
	v_mov_b32_e32 v14, s10
	v_mov_b32_e32 v13, s9
	;; [unrolled: 1-line block ×3, first 2 shown]
	global_store_dwordx4 v30, v[4:7], s[12:13]
	global_store_dwordx4 v30, v[12:15], s[12:13] offset:16
	global_store_dwordx4 v30, v[12:15], s[12:13] offset:32
	;; [unrolled: 1-line block ×3, first 2 shown]
	s_and_saveexec_b32 s8, s1
	s_cbranch_execz .LBB5_428
; %bb.421:
	v_mov_b32_e32 v6, 0
	v_mov_b32_e32 v12, s6
	;; [unrolled: 1-line block ×3, first 2 shown]
	s_mov_b32 s9, exec_lo
	s_clause 0x1
	global_load_dwordx2 v[14:15], v6, s[2:3] offset:32 glc dlc
	global_load_dwordx2 v[2:3], v6, s[2:3] offset:40
	s_waitcnt vmcnt(0)
	v_and_b32_e32 v3, s7, v3
	v_and_b32_e32 v2, s6, v2
	v_mul_lo_u32 v3, v3, 24
	v_mul_hi_u32 v4, v2, 24
	v_mul_lo_u32 v2, v2, 24
	v_add_nc_u32_e32 v3, v4, v3
	v_add_co_u32 v4, vcc_lo, v0, v2
	v_add_co_ci_u32_e64 v5, null, v1, v3, vcc_lo
	global_store_dwordx2 v[4:5], v[14:15], off
	s_waitcnt_vscnt null, 0x0
	global_atomic_cmpswap_x2 v[2:3], v6, v[12:15], s[2:3] offset:32 glc
	s_waitcnt vmcnt(0)
	v_cmpx_ne_u64_e64 v[2:3], v[14:15]
	s_cbranch_execz .LBB5_424
; %bb.422:
	s_mov_b32 s10, 0
.LBB5_423:                              ; =>This Inner Loop Header: Depth=1
	v_mov_b32_e32 v0, s6
	v_mov_b32_e32 v1, s7
	s_sleep 1
	global_store_dwordx2 v[4:5], v[2:3], off
	s_waitcnt_vscnt null, 0x0
	global_atomic_cmpswap_x2 v[0:1], v6, v[0:3], s[2:3] offset:32 glc
	s_waitcnt vmcnt(0)
	v_cmp_eq_u64_e32 vcc_lo, v[0:1], v[2:3]
	v_mov_b32_e32 v3, v1
	v_mov_b32_e32 v2, v0
	s_or_b32 s10, vcc_lo, s10
	s_andn2_b32 exec_lo, exec_lo, s10
	s_cbranch_execnz .LBB5_423
.LBB5_424:
	s_or_b32 exec_lo, exec_lo, s9
	v_mov_b32_e32 v3, 0
	s_mov_b32 s10, exec_lo
	s_mov_b32 s9, exec_lo
	v_mbcnt_lo_u32_b32 v2, s10, 0
	global_load_dwordx2 v[0:1], v3, s[2:3] offset:16
	v_cmpx_eq_u32_e32 0, v2
	s_cbranch_execz .LBB5_426
; %bb.425:
	s_bcnt1_i32_b32 s10, s10
	v_mov_b32_e32 v2, s10
	s_waitcnt vmcnt(0)
	global_atomic_add_x2 v[0:1], v[2:3], off offset:8
.LBB5_426:
	s_or_b32 exec_lo, exec_lo, s9
	s_waitcnt vmcnt(0)
	global_load_dwordx2 v[2:3], v[0:1], off offset:16
	s_waitcnt vmcnt(0)
	v_cmp_eq_u64_e32 vcc_lo, 0, v[2:3]
	s_cbranch_vccnz .LBB5_428
; %bb.427:
	global_load_dword v0, v[0:1], off offset:24
	v_mov_b32_e32 v1, 0
	s_waitcnt vmcnt(0)
	v_readfirstlane_b32 s9, v0
	s_waitcnt_vscnt null, 0x0
	global_store_dwordx2 v[2:3], v[0:1], off
	s_and_b32 m0, s9, 0x7fffff
	s_sendmsg sendmsg(MSG_INTERRUPT)
.LBB5_428:
	s_or_b32 exec_lo, exec_lo, s8
	s_branch .LBB5_432
	.p2align	6
.LBB5_429:                              ;   in Loop: Header=BB5_432 Depth=1
	s_or_b32 exec_lo, exec_lo, s8
	v_readfirstlane_b32 s8, v0
	s_cmp_eq_u32 s8, 0
	s_cbranch_scc1 .LBB5_431
; %bb.430:                              ;   in Loop: Header=BB5_432 Depth=1
	s_sleep 1
	s_cbranch_execnz .LBB5_432
	s_branch .LBB5_434
	.p2align	6
.LBB5_431:
	s_branch .LBB5_434
.LBB5_432:                              ; =>This Inner Loop Header: Depth=1
	v_mov_b32_e32 v0, 1
	s_and_saveexec_b32 s8, s1
	s_cbranch_execz .LBB5_429
; %bb.433:                              ;   in Loop: Header=BB5_432 Depth=1
	global_load_dword v0, v[8:9], off offset:20 glc dlc
	s_waitcnt vmcnt(0)
	buffer_gl1_inv
	buffer_gl0_inv
	v_and_b32_e32 v0, 1, v0
	s_branch .LBB5_429
.LBB5_434:
	global_load_dwordx2 v[0:1], v[10:11], off
	s_and_saveexec_b32 s8, s1
	s_cbranch_execz .LBB5_438
; %bb.435:
	v_mov_b32_e32 v8, 0
	s_clause 0x2
	global_load_dwordx2 v[2:3], v8, s[2:3] offset:40
	global_load_dwordx2 v[11:12], v8, s[2:3] offset:24 glc dlc
	global_load_dwordx2 v[4:5], v8, s[2:3]
	s_waitcnt vmcnt(2)
	v_readfirstlane_b32 s10, v2
	v_readfirstlane_b32 s11, v3
	s_add_u32 s1, s10, 1
	s_addc_u32 s9, s11, 0
	s_add_u32 s6, s1, s6
	s_addc_u32 s7, s9, s7
	s_cmp_eq_u64 s[6:7], 0
	s_cselect_b32 s7, s9, s7
	s_cselect_b32 s6, s1, s6
	v_mov_b32_e32 v10, s7
	s_and_b64 s[10:11], s[6:7], s[10:11]
	v_mov_b32_e32 v9, s6
	s_mul_i32 s1, s11, 24
	s_mul_hi_u32 s9, s10, 24
	s_mul_i32 s10, s10, 24
	s_add_i32 s9, s9, s1
	s_waitcnt vmcnt(0)
	v_add_co_u32 v6, vcc_lo, v4, s10
	v_add_co_ci_u32_e64 v7, null, s9, v5, vcc_lo
	global_store_dwordx2 v[6:7], v[11:12], off
	s_waitcnt_vscnt null, 0x0
	global_atomic_cmpswap_x2 v[4:5], v8, v[9:12], s[2:3] offset:24 glc
	s_waitcnt vmcnt(0)
	v_cmp_ne_u64_e32 vcc_lo, v[4:5], v[11:12]
	s_and_b32 exec_lo, exec_lo, vcc_lo
	s_cbranch_execz .LBB5_438
; %bb.436:
	s_mov_b32 s1, 0
.LBB5_437:                              ; =>This Inner Loop Header: Depth=1
	v_mov_b32_e32 v2, s6
	v_mov_b32_e32 v3, s7
	s_sleep 1
	global_store_dwordx2 v[6:7], v[4:5], off
	s_waitcnt_vscnt null, 0x0
	global_atomic_cmpswap_x2 v[2:3], v8, v[2:5], s[2:3] offset:24 glc
	s_waitcnt vmcnt(0)
	v_cmp_eq_u64_e32 vcc_lo, v[2:3], v[4:5]
	v_mov_b32_e32 v5, v3
	v_mov_b32_e32 v4, v2
	s_or_b32 s1, vcc_lo, s1
	s_andn2_b32 exec_lo, exec_lo, s1
	s_cbranch_execnz .LBB5_437
.LBB5_438:
	s_or_b32 exec_lo, exec_lo, s8
	s_getpc_b64 s[6:7]
	s_add_u32 s6, s6, .str.9@rel32@lo+4
	s_addc_u32 s7, s7, .str.9@rel32@hi+12
	s_cmp_lg_u64 s[6:7], 0
	s_cselect_b32 s1, -1, 0
	s_cmp_eq_u64 s[6:7], 0
	s_mov_b64 s[6:7], 0
	s_cbranch_scc1 .LBB5_442
; %bb.439:
	v_mov_b32_e32 v2, 0
	s_getpc_b64 s[6:7]
	s_add_u32 s6, s6, .str.9@rel32@lo+3
	s_addc_u32 s7, s7, .str.9@rel32@hi+11
.LBB5_440:                              ; =>This Inner Loop Header: Depth=1
	global_load_ubyte v3, v2, s[6:7] offset:1
	s_add_u32 s8, s6, 1
	s_addc_u32 s9, s7, 0
	s_mov_b64 s[6:7], s[8:9]
	s_waitcnt vmcnt(0)
	v_cmp_ne_u32_e32 vcc_lo, 0, v3
	s_cbranch_vccnz .LBB5_440
; %bb.441:
	s_getpc_b64 s[6:7]
	s_add_u32 s6, s6, .str.9@rel32@lo+4
	s_addc_u32 s7, s7, .str.9@rel32@hi+12
	s_sub_u32 s6, s8, s6
	s_subb_u32 s7, s9, s7
	s_add_u32 s6, s6, 1
	s_addc_u32 s7, s7, 0
.LBB5_442:
	s_and_b32 vcc_lo, exec_lo, s1
	s_cbranch_vccz .LBB5_521
; %bb.443:
	s_waitcnt vmcnt(0)
	v_and_b32_e32 v32, 2, v0
	v_mov_b32_e32 v7, 0
	v_and_b32_e32 v2, -3, v0
	v_mov_b32_e32 v3, v1
	v_mov_b32_e32 v8, 2
	;; [unrolled: 1-line block ×3, first 2 shown]
	s_getpc_b64 s[8:9]
	s_add_u32 s8, s8, .str.9@rel32@lo+4
	s_addc_u32 s9, s9, .str.9@rel32@hi+12
	s_branch .LBB5_445
.LBB5_444:                              ;   in Loop: Header=BB5_445 Depth=1
	s_or_b32 exec_lo, exec_lo, s14
	s_sub_u32 s6, s6, s10
	s_subb_u32 s7, s7, s11
	s_add_u32 s8, s8, s10
	s_addc_u32 s9, s9, s11
	s_cmp_lg_u64 s[6:7], 0
	s_cbranch_scc0 .LBB5_520
.LBB5_445:                              ; =>This Loop Header: Depth=1
                                        ;     Child Loop BB5_448 Depth 2
                                        ;     Child Loop BB5_455 Depth 2
	;; [unrolled: 1-line block ×11, first 2 shown]
	v_cmp_lt_u64_e64 s1, s[6:7], 56
	v_cmp_gt_u64_e64 s14, s[6:7], 7
	s_and_b32 s1, s1, exec_lo
	s_cselect_b32 s11, s7, 0
	s_cselect_b32 s10, s6, 56
	s_add_u32 s12, s8, 8
	s_addc_u32 s13, s9, 0
	s_and_b32 vcc_lo, exec_lo, s14
	s_cbranch_vccnz .LBB5_450
; %bb.446:                              ;   in Loop: Header=BB5_445 Depth=1
	v_mov_b32_e32 v4, 0
	v_mov_b32_e32 v5, 0
	s_cmp_eq_u64 s[6:7], 0
	s_cbranch_scc1 .LBB5_449
; %bb.447:                              ;   in Loop: Header=BB5_445 Depth=1
	s_lshl_b64 s[12:13], s[10:11], 3
	s_mov_b64 s[14:15], 0
	s_mov_b64 s[16:17], s[8:9]
.LBB5_448:                              ;   Parent Loop BB5_445 Depth=1
                                        ; =>  This Inner Loop Header: Depth=2
	global_load_ubyte v6, v7, s[16:17]
	s_waitcnt vmcnt(0)
	v_and_b32_e32 v6, 0xffff, v6
	v_lshlrev_b64 v[10:11], s14, v[6:7]
	s_add_u32 s14, s14, 8
	s_addc_u32 s15, s15, 0
	s_add_u32 s16, s16, 1
	s_addc_u32 s17, s17, 0
	s_cmp_lg_u32 s12, s14
	v_or_b32_e32 v4, v10, v4
	v_or_b32_e32 v5, v11, v5
	s_cbranch_scc1 .LBB5_448
.LBB5_449:                              ;   in Loop: Header=BB5_445 Depth=1
	s_mov_b64 s[12:13], s[8:9]
	s_mov_b32 s1, 0
	s_cbranch_execz .LBB5_451
	s_branch .LBB5_452
.LBB5_450:                              ;   in Loop: Header=BB5_445 Depth=1
	s_mov_b32 s1, 0
.LBB5_451:                              ;   in Loop: Header=BB5_445 Depth=1
	global_load_dwordx2 v[4:5], v7, s[8:9]
	s_add_i32 s1, s10, -8
.LBB5_452:                              ;   in Loop: Header=BB5_445 Depth=1
	s_add_u32 s14, s12, 8
	s_addc_u32 s15, s13, 0
	s_cmp_gt_u32 s1, 7
	s_cbranch_scc1 .LBB5_457
; %bb.453:                              ;   in Loop: Header=BB5_445 Depth=1
	v_mov_b32_e32 v10, 0
	v_mov_b32_e32 v11, 0
	s_cmp_eq_u32 s1, 0
	s_cbranch_scc1 .LBB5_456
; %bb.454:                              ;   in Loop: Header=BB5_445 Depth=1
	s_mov_b64 s[14:15], 0
	s_mov_b64 s[16:17], 0
.LBB5_455:                              ;   Parent Loop BB5_445 Depth=1
                                        ; =>  This Inner Loop Header: Depth=2
	s_add_u32 s18, s12, s16
	s_addc_u32 s19, s13, s17
	s_add_u32 s16, s16, 1
	global_load_ubyte v6, v7, s[18:19]
	s_addc_u32 s17, s17, 0
	s_waitcnt vmcnt(0)
	v_and_b32_e32 v6, 0xffff, v6
	v_lshlrev_b64 v[12:13], s14, v[6:7]
	s_add_u32 s14, s14, 8
	s_addc_u32 s15, s15, 0
	s_cmp_lg_u32 s1, s16
	v_or_b32_e32 v10, v12, v10
	v_or_b32_e32 v11, v13, v11
	s_cbranch_scc1 .LBB5_455
.LBB5_456:                              ;   in Loop: Header=BB5_445 Depth=1
	s_mov_b64 s[14:15], s[12:13]
	s_mov_b32 s18, 0
	s_cbranch_execz .LBB5_458
	s_branch .LBB5_459
.LBB5_457:                              ;   in Loop: Header=BB5_445 Depth=1
                                        ; implicit-def: $vgpr10_vgpr11
	s_mov_b32 s18, 0
.LBB5_458:                              ;   in Loop: Header=BB5_445 Depth=1
	global_load_dwordx2 v[10:11], v7, s[12:13]
	s_add_i32 s18, s1, -8
.LBB5_459:                              ;   in Loop: Header=BB5_445 Depth=1
	s_add_u32 s12, s14, 8
	s_addc_u32 s13, s15, 0
	s_cmp_gt_u32 s18, 7
	s_cbranch_scc1 .LBB5_464
; %bb.460:                              ;   in Loop: Header=BB5_445 Depth=1
	v_mov_b32_e32 v12, 0
	v_mov_b32_e32 v13, 0
	s_cmp_eq_u32 s18, 0
	s_cbranch_scc1 .LBB5_463
; %bb.461:                              ;   in Loop: Header=BB5_445 Depth=1
	s_mov_b64 s[12:13], 0
	s_mov_b64 s[16:17], 0
.LBB5_462:                              ;   Parent Loop BB5_445 Depth=1
                                        ; =>  This Inner Loop Header: Depth=2
	s_add_u32 s22, s14, s16
	s_addc_u32 s23, s15, s17
	s_add_u32 s16, s16, 1
	global_load_ubyte v6, v7, s[22:23]
	s_addc_u32 s17, s17, 0
	s_waitcnt vmcnt(0)
	v_and_b32_e32 v6, 0xffff, v6
	v_lshlrev_b64 v[14:15], s12, v[6:7]
	s_add_u32 s12, s12, 8
	s_addc_u32 s13, s13, 0
	s_cmp_lg_u32 s18, s16
	v_or_b32_e32 v12, v14, v12
	v_or_b32_e32 v13, v15, v13
	s_cbranch_scc1 .LBB5_462
.LBB5_463:                              ;   in Loop: Header=BB5_445 Depth=1
	s_mov_b64 s[12:13], s[14:15]
	s_mov_b32 s1, 0
	s_cbranch_execz .LBB5_465
	s_branch .LBB5_466
.LBB5_464:                              ;   in Loop: Header=BB5_445 Depth=1
	s_mov_b32 s1, 0
.LBB5_465:                              ;   in Loop: Header=BB5_445 Depth=1
	global_load_dwordx2 v[12:13], v7, s[14:15]
	s_add_i32 s1, s18, -8
.LBB5_466:                              ;   in Loop: Header=BB5_445 Depth=1
	s_add_u32 s14, s12, 8
	s_addc_u32 s15, s13, 0
	s_cmp_gt_u32 s1, 7
	s_cbranch_scc1 .LBB5_471
; %bb.467:                              ;   in Loop: Header=BB5_445 Depth=1
	v_mov_b32_e32 v14, 0
	v_mov_b32_e32 v15, 0
	s_cmp_eq_u32 s1, 0
	s_cbranch_scc1 .LBB5_470
; %bb.468:                              ;   in Loop: Header=BB5_445 Depth=1
	s_mov_b64 s[14:15], 0
	s_mov_b64 s[16:17], 0
.LBB5_469:                              ;   Parent Loop BB5_445 Depth=1
                                        ; =>  This Inner Loop Header: Depth=2
	s_add_u32 s18, s12, s16
	s_addc_u32 s19, s13, s17
	s_add_u32 s16, s16, 1
	global_load_ubyte v6, v7, s[18:19]
	s_addc_u32 s17, s17, 0
	s_waitcnt vmcnt(0)
	v_and_b32_e32 v6, 0xffff, v6
	v_lshlrev_b64 v[16:17], s14, v[6:7]
	s_add_u32 s14, s14, 8
	s_addc_u32 s15, s15, 0
	s_cmp_lg_u32 s1, s16
	v_or_b32_e32 v14, v16, v14
	v_or_b32_e32 v15, v17, v15
	s_cbranch_scc1 .LBB5_469
.LBB5_470:                              ;   in Loop: Header=BB5_445 Depth=1
	s_mov_b64 s[14:15], s[12:13]
	s_mov_b32 s18, 0
	s_cbranch_execz .LBB5_472
	s_branch .LBB5_473
.LBB5_471:                              ;   in Loop: Header=BB5_445 Depth=1
                                        ; implicit-def: $vgpr14_vgpr15
	s_mov_b32 s18, 0
.LBB5_472:                              ;   in Loop: Header=BB5_445 Depth=1
	global_load_dwordx2 v[14:15], v7, s[12:13]
	s_add_i32 s18, s1, -8
.LBB5_473:                              ;   in Loop: Header=BB5_445 Depth=1
	s_add_u32 s12, s14, 8
	s_addc_u32 s13, s15, 0
	s_cmp_gt_u32 s18, 7
	s_cbranch_scc1 .LBB5_478
; %bb.474:                              ;   in Loop: Header=BB5_445 Depth=1
	v_mov_b32_e32 v16, 0
	v_mov_b32_e32 v17, 0
	s_cmp_eq_u32 s18, 0
	s_cbranch_scc1 .LBB5_477
; %bb.475:                              ;   in Loop: Header=BB5_445 Depth=1
	s_mov_b64 s[12:13], 0
	s_mov_b64 s[16:17], 0
.LBB5_476:                              ;   Parent Loop BB5_445 Depth=1
                                        ; =>  This Inner Loop Header: Depth=2
	s_add_u32 s22, s14, s16
	s_addc_u32 s23, s15, s17
	s_add_u32 s16, s16, 1
	global_load_ubyte v6, v7, s[22:23]
	s_addc_u32 s17, s17, 0
	s_waitcnt vmcnt(0)
	v_and_b32_e32 v6, 0xffff, v6
	v_lshlrev_b64 v[18:19], s12, v[6:7]
	s_add_u32 s12, s12, 8
	s_addc_u32 s13, s13, 0
	s_cmp_lg_u32 s18, s16
	v_or_b32_e32 v16, v18, v16
	v_or_b32_e32 v17, v19, v17
	s_cbranch_scc1 .LBB5_476
.LBB5_477:                              ;   in Loop: Header=BB5_445 Depth=1
	s_mov_b64 s[12:13], s[14:15]
	s_mov_b32 s1, 0
	s_cbranch_execz .LBB5_479
	s_branch .LBB5_480
.LBB5_478:                              ;   in Loop: Header=BB5_445 Depth=1
	s_mov_b32 s1, 0
.LBB5_479:                              ;   in Loop: Header=BB5_445 Depth=1
	global_load_dwordx2 v[16:17], v7, s[14:15]
	s_add_i32 s1, s18, -8
.LBB5_480:                              ;   in Loop: Header=BB5_445 Depth=1
	s_add_u32 s14, s12, 8
	s_addc_u32 s15, s13, 0
	s_cmp_gt_u32 s1, 7
	s_cbranch_scc1 .LBB5_485
; %bb.481:                              ;   in Loop: Header=BB5_445 Depth=1
	v_mov_b32_e32 v18, 0
	v_mov_b32_e32 v19, 0
	s_cmp_eq_u32 s1, 0
	s_cbranch_scc1 .LBB5_484
; %bb.482:                              ;   in Loop: Header=BB5_445 Depth=1
	s_mov_b64 s[14:15], 0
	s_mov_b64 s[16:17], 0
.LBB5_483:                              ;   Parent Loop BB5_445 Depth=1
                                        ; =>  This Inner Loop Header: Depth=2
	s_add_u32 s18, s12, s16
	s_addc_u32 s19, s13, s17
	s_add_u32 s16, s16, 1
	global_load_ubyte v6, v7, s[18:19]
	s_addc_u32 s17, s17, 0
	s_waitcnt vmcnt(0)
	v_and_b32_e32 v6, 0xffff, v6
	v_lshlrev_b64 v[20:21], s14, v[6:7]
	s_add_u32 s14, s14, 8
	s_addc_u32 s15, s15, 0
	s_cmp_lg_u32 s1, s16
	v_or_b32_e32 v18, v20, v18
	v_or_b32_e32 v19, v21, v19
	s_cbranch_scc1 .LBB5_483
.LBB5_484:                              ;   in Loop: Header=BB5_445 Depth=1
	s_mov_b64 s[14:15], s[12:13]
	s_mov_b32 s18, 0
	s_cbranch_execz .LBB5_486
	s_branch .LBB5_487
.LBB5_485:                              ;   in Loop: Header=BB5_445 Depth=1
                                        ; implicit-def: $vgpr18_vgpr19
	s_mov_b32 s18, 0
.LBB5_486:                              ;   in Loop: Header=BB5_445 Depth=1
	global_load_dwordx2 v[18:19], v7, s[12:13]
	s_add_i32 s18, s1, -8
.LBB5_487:                              ;   in Loop: Header=BB5_445 Depth=1
	s_cmp_gt_u32 s18, 7
	s_cbranch_scc1 .LBB5_492
; %bb.488:                              ;   in Loop: Header=BB5_445 Depth=1
	v_mov_b32_e32 v20, 0
	v_mov_b32_e32 v21, 0
	s_cmp_eq_u32 s18, 0
	s_cbranch_scc1 .LBB5_491
; %bb.489:                              ;   in Loop: Header=BB5_445 Depth=1
	s_mov_b64 s[12:13], 0
	s_mov_b64 s[16:17], s[14:15]
.LBB5_490:                              ;   Parent Loop BB5_445 Depth=1
                                        ; =>  This Inner Loop Header: Depth=2
	global_load_ubyte v6, v7, s[16:17]
	s_add_i32 s18, s18, -1
	s_waitcnt vmcnt(0)
	v_and_b32_e32 v6, 0xffff, v6
	v_lshlrev_b64 v[22:23], s12, v[6:7]
	s_add_u32 s12, s12, 8
	s_addc_u32 s13, s13, 0
	s_add_u32 s16, s16, 1
	s_addc_u32 s17, s17, 0
	s_cmp_lg_u32 s18, 0
	v_or_b32_e32 v20, v22, v20
	v_or_b32_e32 v21, v23, v21
	s_cbranch_scc1 .LBB5_490
.LBB5_491:                              ;   in Loop: Header=BB5_445 Depth=1
	s_cbranch_execz .LBB5_493
	s_branch .LBB5_494
.LBB5_492:                              ;   in Loop: Header=BB5_445 Depth=1
.LBB5_493:                              ;   in Loop: Header=BB5_445 Depth=1
	global_load_dwordx2 v[20:21], v7, s[14:15]
.LBB5_494:                              ;   in Loop: Header=BB5_445 Depth=1
	v_readfirstlane_b32 s1, v31
	v_mov_b32_e32 v27, 0
	v_mov_b32_e32 v28, 0
	v_cmp_eq_u32_e64 s1, s1, v31
	s_and_saveexec_b32 s12, s1
	s_cbranch_execz .LBB5_500
; %bb.495:                              ;   in Loop: Header=BB5_445 Depth=1
	global_load_dwordx2 v[24:25], v7, s[2:3] offset:24 glc dlc
	s_waitcnt vmcnt(0)
	buffer_gl1_inv
	buffer_gl0_inv
	s_clause 0x1
	global_load_dwordx2 v[22:23], v7, s[2:3] offset:40
	global_load_dwordx2 v[27:28], v7, s[2:3]
	s_mov_b32 s13, exec_lo
	s_waitcnt vmcnt(1)
	v_and_b32_e32 v6, v23, v25
	v_and_b32_e32 v22, v22, v24
	v_mul_lo_u32 v6, v6, 24
	v_mul_hi_u32 v23, v22, 24
	v_mul_lo_u32 v22, v22, 24
	v_add_nc_u32_e32 v6, v23, v6
	s_waitcnt vmcnt(0)
	v_add_co_u32 v22, vcc_lo, v27, v22
	v_add_co_ci_u32_e64 v23, null, v28, v6, vcc_lo
	global_load_dwordx2 v[22:23], v[22:23], off glc dlc
	s_waitcnt vmcnt(0)
	global_atomic_cmpswap_x2 v[27:28], v7, v[22:25], s[2:3] offset:24 glc
	s_waitcnt vmcnt(0)
	buffer_gl1_inv
	buffer_gl0_inv
	v_cmpx_ne_u64_e64 v[27:28], v[24:25]
	s_cbranch_execz .LBB5_499
; %bb.496:                              ;   in Loop: Header=BB5_445 Depth=1
	s_mov_b32 s14, 0
	.p2align	6
.LBB5_497:                              ;   Parent Loop BB5_445 Depth=1
                                        ; =>  This Inner Loop Header: Depth=2
	s_sleep 1
	s_clause 0x1
	global_load_dwordx2 v[22:23], v7, s[2:3] offset:40
	global_load_dwordx2 v[33:34], v7, s[2:3]
	v_mov_b32_e32 v24, v27
	v_mov_b32_e32 v25, v28
	s_waitcnt vmcnt(1)
	v_and_b32_e32 v6, v22, v24
	v_and_b32_e32 v22, v23, v25
	s_waitcnt vmcnt(0)
	v_mad_u64_u32 v[27:28], null, v6, 24, v[33:34]
	v_mov_b32_e32 v6, v28
	v_mad_u64_u32 v[22:23], null, v22, 24, v[6:7]
	v_mov_b32_e32 v28, v22
	global_load_dwordx2 v[22:23], v[27:28], off glc dlc
	s_waitcnt vmcnt(0)
	global_atomic_cmpswap_x2 v[27:28], v7, v[22:25], s[2:3] offset:24 glc
	s_waitcnt vmcnt(0)
	buffer_gl1_inv
	buffer_gl0_inv
	v_cmp_eq_u64_e32 vcc_lo, v[27:28], v[24:25]
	s_or_b32 s14, vcc_lo, s14
	s_andn2_b32 exec_lo, exec_lo, s14
	s_cbranch_execnz .LBB5_497
; %bb.498:                              ;   in Loop: Header=BB5_445 Depth=1
	s_or_b32 exec_lo, exec_lo, s14
.LBB5_499:                              ;   in Loop: Header=BB5_445 Depth=1
	s_or_b32 exec_lo, exec_lo, s13
.LBB5_500:                              ;   in Loop: Header=BB5_445 Depth=1
	s_or_b32 exec_lo, exec_lo, s12
	s_clause 0x1
	global_load_dwordx2 v[33:34], v7, s[2:3] offset:40
	global_load_dwordx4 v[22:25], v7, s[2:3]
	v_readfirstlane_b32 s13, v28
	v_readfirstlane_b32 s12, v27
	s_mov_b32 s16, exec_lo
	s_waitcnt vmcnt(1)
	v_readfirstlane_b32 s14, v33
	v_readfirstlane_b32 s15, v34
	s_and_b64 s[14:15], s[14:15], s[12:13]
	s_mul_i32 s17, s15, 24
	s_mul_hi_u32 s18, s14, 24
	s_mul_i32 s19, s14, 24
	s_add_i32 s18, s18, s17
	s_waitcnt vmcnt(0)
	v_add_co_u32 v27, vcc_lo, v22, s19
	v_add_co_ci_u32_e64 v28, null, s18, v23, vcc_lo
	s_and_saveexec_b32 s17, s1
	s_cbranch_execz .LBB5_502
; %bb.501:                              ;   in Loop: Header=BB5_445 Depth=1
	v_mov_b32_e32 v6, s16
	global_store_dwordx4 v[27:28], v[6:9], off offset:8
.LBB5_502:                              ;   in Loop: Header=BB5_445 Depth=1
	s_or_b32 exec_lo, exec_lo, s17
	v_cmp_lt_u64_e64 vcc_lo, s[6:7], 57
	s_lshl_b64 s[14:15], s[14:15], 12
	v_and_b32_e32 v2, 0xffffff1f, v2
	v_cndmask_b32_e32 v6, 0, v32, vcc_lo
	v_add_co_u32 v24, vcc_lo, v24, s14
	v_add_co_ci_u32_e64 v25, null, s15, v25, vcc_lo
	v_or_b32_e32 v2, v2, v6
	s_lshl_b32 s14, s10, 2
	s_add_i32 s16, s14, 28
	v_readfirstlane_b32 s14, v24
	v_readfirstlane_b32 s15, v25
	v_and_or_b32 v2, 0x1e0, s16, v2
	global_store_dwordx4 v30, v[10:13], s[14:15] offset:16
	global_store_dwordx4 v30, v[2:5], s[14:15]
	global_store_dwordx4 v30, v[14:17], s[14:15] offset:32
	global_store_dwordx4 v30, v[18:21], s[14:15] offset:48
	s_and_saveexec_b32 s14, s1
	s_cbranch_execz .LBB5_510
; %bb.503:                              ;   in Loop: Header=BB5_445 Depth=1
	s_clause 0x1
	global_load_dwordx2 v[14:15], v7, s[2:3] offset:32 glc dlc
	global_load_dwordx2 v[2:3], v7, s[2:3] offset:40
	v_mov_b32_e32 v12, s12
	v_mov_b32_e32 v13, s13
	s_waitcnt vmcnt(0)
	v_readfirstlane_b32 s16, v2
	v_readfirstlane_b32 s17, v3
	s_and_b64 s[16:17], s[16:17], s[12:13]
	s_mul_i32 s15, s17, 24
	s_mul_hi_u32 s17, s16, 24
	s_mul_i32 s16, s16, 24
	s_add_i32 s17, s17, s15
	v_add_co_u32 v10, vcc_lo, v22, s16
	v_add_co_ci_u32_e64 v11, null, s17, v23, vcc_lo
	s_mov_b32 s15, exec_lo
	global_store_dwordx2 v[10:11], v[14:15], off
	s_waitcnt_vscnt null, 0x0
	global_atomic_cmpswap_x2 v[4:5], v7, v[12:15], s[2:3] offset:32 glc
	s_waitcnt vmcnt(0)
	v_cmpx_ne_u64_e64 v[4:5], v[14:15]
	s_cbranch_execz .LBB5_506
; %bb.504:                              ;   in Loop: Header=BB5_445 Depth=1
	s_mov_b32 s16, 0
.LBB5_505:                              ;   Parent Loop BB5_445 Depth=1
                                        ; =>  This Inner Loop Header: Depth=2
	v_mov_b32_e32 v2, s12
	v_mov_b32_e32 v3, s13
	s_sleep 1
	global_store_dwordx2 v[10:11], v[4:5], off
	s_waitcnt_vscnt null, 0x0
	global_atomic_cmpswap_x2 v[2:3], v7, v[2:5], s[2:3] offset:32 glc
	s_waitcnt vmcnt(0)
	v_cmp_eq_u64_e32 vcc_lo, v[2:3], v[4:5]
	v_mov_b32_e32 v5, v3
	v_mov_b32_e32 v4, v2
	s_or_b32 s16, vcc_lo, s16
	s_andn2_b32 exec_lo, exec_lo, s16
	s_cbranch_execnz .LBB5_505
.LBB5_506:                              ;   in Loop: Header=BB5_445 Depth=1
	s_or_b32 exec_lo, exec_lo, s15
	global_load_dwordx2 v[2:3], v7, s[2:3] offset:16
	s_mov_b32 s16, exec_lo
	s_mov_b32 s15, exec_lo
	v_mbcnt_lo_u32_b32 v4, s16, 0
	v_cmpx_eq_u32_e32 0, v4
	s_cbranch_execz .LBB5_508
; %bb.507:                              ;   in Loop: Header=BB5_445 Depth=1
	s_bcnt1_i32_b32 s16, s16
	v_mov_b32_e32 v6, s16
	s_waitcnt vmcnt(0)
	global_atomic_add_x2 v[2:3], v[6:7], off offset:8
.LBB5_508:                              ;   in Loop: Header=BB5_445 Depth=1
	s_or_b32 exec_lo, exec_lo, s15
	s_waitcnt vmcnt(0)
	global_load_dwordx2 v[4:5], v[2:3], off offset:16
	s_waitcnt vmcnt(0)
	v_cmp_eq_u64_e32 vcc_lo, 0, v[4:5]
	s_cbranch_vccnz .LBB5_510
; %bb.509:                              ;   in Loop: Header=BB5_445 Depth=1
	global_load_dword v6, v[2:3], off offset:24
	s_waitcnt vmcnt(0)
	v_readfirstlane_b32 s15, v6
	s_waitcnt_vscnt null, 0x0
	global_store_dwordx2 v[4:5], v[6:7], off
	s_and_b32 m0, s15, 0x7fffff
	s_sendmsg sendmsg(MSG_INTERRUPT)
.LBB5_510:                              ;   in Loop: Header=BB5_445 Depth=1
	s_or_b32 exec_lo, exec_lo, s14
	v_add_co_u32 v2, vcc_lo, v24, v30
	v_add_co_ci_u32_e64 v3, null, 0, v25, vcc_lo
	s_branch .LBB5_514
	.p2align	6
.LBB5_511:                              ;   in Loop: Header=BB5_514 Depth=2
	s_or_b32 exec_lo, exec_lo, s14
	v_readfirstlane_b32 s14, v4
	s_cmp_eq_u32 s14, 0
	s_cbranch_scc1 .LBB5_513
; %bb.512:                              ;   in Loop: Header=BB5_514 Depth=2
	s_sleep 1
	s_cbranch_execnz .LBB5_514
	s_branch .LBB5_516
	.p2align	6
.LBB5_513:                              ;   in Loop: Header=BB5_445 Depth=1
	s_branch .LBB5_516
.LBB5_514:                              ;   Parent Loop BB5_445 Depth=1
                                        ; =>  This Inner Loop Header: Depth=2
	v_mov_b32_e32 v4, 1
	s_and_saveexec_b32 s14, s1
	s_cbranch_execz .LBB5_511
; %bb.515:                              ;   in Loop: Header=BB5_514 Depth=2
	global_load_dword v4, v[27:28], off offset:20 glc dlc
	s_waitcnt vmcnt(0)
	buffer_gl1_inv
	buffer_gl0_inv
	v_and_b32_e32 v4, 1, v4
	s_branch .LBB5_511
.LBB5_516:                              ;   in Loop: Header=BB5_445 Depth=1
	global_load_dwordx2 v[2:3], v[2:3], off
	s_and_saveexec_b32 s14, s1
	s_cbranch_execz .LBB5_444
; %bb.517:                              ;   in Loop: Header=BB5_445 Depth=1
	s_clause 0x2
	global_load_dwordx2 v[4:5], v7, s[2:3] offset:40
	global_load_dwordx2 v[14:15], v7, s[2:3] offset:24 glc dlc
	global_load_dwordx2 v[10:11], v7, s[2:3]
	s_waitcnt vmcnt(2)
	v_readfirstlane_b32 s16, v4
	v_readfirstlane_b32 s17, v5
	s_add_u32 s1, s16, 1
	s_addc_u32 s15, s17, 0
	s_add_u32 s12, s1, s12
	s_addc_u32 s13, s15, s13
	s_cmp_eq_u64 s[12:13], 0
	s_cselect_b32 s13, s15, s13
	s_cselect_b32 s12, s1, s12
	v_mov_b32_e32 v13, s13
	s_and_b64 s[16:17], s[12:13], s[16:17]
	v_mov_b32_e32 v12, s12
	s_mul_i32 s1, s17, 24
	s_mul_hi_u32 s15, s16, 24
	s_mul_i32 s16, s16, 24
	s_add_i32 s15, s15, s1
	s_waitcnt vmcnt(0)
	v_add_co_u32 v4, vcc_lo, v10, s16
	v_add_co_ci_u32_e64 v5, null, s15, v11, vcc_lo
	global_store_dwordx2 v[4:5], v[14:15], off
	s_waitcnt_vscnt null, 0x0
	global_atomic_cmpswap_x2 v[12:13], v7, v[12:15], s[2:3] offset:24 glc
	s_waitcnt vmcnt(0)
	v_cmp_ne_u64_e32 vcc_lo, v[12:13], v[14:15]
	s_and_b32 exec_lo, exec_lo, vcc_lo
	s_cbranch_execz .LBB5_444
; %bb.518:                              ;   in Loop: Header=BB5_445 Depth=1
	s_mov_b32 s1, 0
.LBB5_519:                              ;   Parent Loop BB5_445 Depth=1
                                        ; =>  This Inner Loop Header: Depth=2
	v_mov_b32_e32 v10, s12
	v_mov_b32_e32 v11, s13
	s_sleep 1
	global_store_dwordx2 v[4:5], v[12:13], off
	s_waitcnt_vscnt null, 0x0
	global_atomic_cmpswap_x2 v[10:11], v7, v[10:13], s[2:3] offset:24 glc
	s_waitcnt vmcnt(0)
	v_cmp_eq_u64_e32 vcc_lo, v[10:11], v[12:13]
	v_mov_b32_e32 v13, v11
	v_mov_b32_e32 v12, v10
	s_or_b32 s1, vcc_lo, s1
	s_andn2_b32 exec_lo, exec_lo, s1
	s_cbranch_execnz .LBB5_519
	s_branch .LBB5_444
.LBB5_520:
	s_branch .LBB5_549
.LBB5_521:
                                        ; implicit-def: $vgpr2_vgpr3
	s_cbranch_execz .LBB5_549
; %bb.522:
	v_readfirstlane_b32 s1, v31
	v_mov_b32_e32 v8, 0
	v_mov_b32_e32 v9, 0
	v_cmp_eq_u32_e64 s1, s1, v31
	s_and_saveexec_b32 s6, s1
	s_cbranch_execz .LBB5_528
; %bb.523:
	s_waitcnt vmcnt(0)
	v_mov_b32_e32 v2, 0
	s_mov_b32 s7, exec_lo
	global_load_dwordx2 v[5:6], v2, s[2:3] offset:24 glc dlc
	s_waitcnt vmcnt(0)
	buffer_gl1_inv
	buffer_gl0_inv
	s_clause 0x1
	global_load_dwordx2 v[3:4], v2, s[2:3] offset:40
	global_load_dwordx2 v[7:8], v2, s[2:3]
	s_waitcnt vmcnt(1)
	v_and_b32_e32 v4, v4, v6
	v_and_b32_e32 v3, v3, v5
	v_mul_lo_u32 v4, v4, 24
	v_mul_hi_u32 v9, v3, 24
	v_mul_lo_u32 v3, v3, 24
	v_add_nc_u32_e32 v4, v9, v4
	s_waitcnt vmcnt(0)
	v_add_co_u32 v3, vcc_lo, v7, v3
	v_add_co_ci_u32_e64 v4, null, v8, v4, vcc_lo
	global_load_dwordx2 v[3:4], v[3:4], off glc dlc
	s_waitcnt vmcnt(0)
	global_atomic_cmpswap_x2 v[8:9], v2, v[3:6], s[2:3] offset:24 glc
	s_waitcnt vmcnt(0)
	buffer_gl1_inv
	buffer_gl0_inv
	v_cmpx_ne_u64_e64 v[8:9], v[5:6]
	s_cbranch_execz .LBB5_527
; %bb.524:
	s_mov_b32 s8, 0
	.p2align	6
.LBB5_525:                              ; =>This Inner Loop Header: Depth=1
	s_sleep 1
	s_clause 0x1
	global_load_dwordx2 v[3:4], v2, s[2:3] offset:40
	global_load_dwordx2 v[10:11], v2, s[2:3]
	v_mov_b32_e32 v5, v8
	v_mov_b32_e32 v6, v9
	s_waitcnt vmcnt(1)
	v_and_b32_e32 v3, v3, v5
	v_and_b32_e32 v4, v4, v6
	s_waitcnt vmcnt(0)
	v_mad_u64_u32 v[7:8], null, v3, 24, v[10:11]
	v_mov_b32_e32 v3, v8
	v_mad_u64_u32 v[3:4], null, v4, 24, v[3:4]
	v_mov_b32_e32 v8, v3
	global_load_dwordx2 v[3:4], v[7:8], off glc dlc
	s_waitcnt vmcnt(0)
	global_atomic_cmpswap_x2 v[8:9], v2, v[3:6], s[2:3] offset:24 glc
	s_waitcnt vmcnt(0)
	buffer_gl1_inv
	buffer_gl0_inv
	v_cmp_eq_u64_e32 vcc_lo, v[8:9], v[5:6]
	s_or_b32 s8, vcc_lo, s8
	s_andn2_b32 exec_lo, exec_lo, s8
	s_cbranch_execnz .LBB5_525
; %bb.526:
	s_or_b32 exec_lo, exec_lo, s8
.LBB5_527:
	s_or_b32 exec_lo, exec_lo, s7
.LBB5_528:
	s_or_b32 exec_lo, exec_lo, s6
	s_waitcnt vmcnt(0)
	v_mov_b32_e32 v2, 0
	v_readfirstlane_b32 s7, v9
	v_readfirstlane_b32 s6, v8
	s_mov_b32 s10, exec_lo
	s_clause 0x1
	global_load_dwordx2 v[10:11], v2, s[2:3] offset:40
	global_load_dwordx4 v[4:7], v2, s[2:3]
	s_waitcnt vmcnt(1)
	v_readfirstlane_b32 s8, v10
	v_readfirstlane_b32 s9, v11
	s_and_b64 s[8:9], s[8:9], s[6:7]
	s_mul_i32 s11, s9, 24
	s_mul_hi_u32 s12, s8, 24
	s_mul_i32 s13, s8, 24
	s_add_i32 s12, s12, s11
	s_waitcnt vmcnt(0)
	v_add_co_u32 v8, vcc_lo, v4, s13
	v_add_co_ci_u32_e64 v9, null, s12, v5, vcc_lo
	s_and_saveexec_b32 s11, s1
	s_cbranch_execz .LBB5_530
; %bb.529:
	v_mov_b32_e32 v10, s10
	v_mov_b32_e32 v11, v2
	;; [unrolled: 1-line block ×4, first 2 shown]
	global_store_dwordx4 v[8:9], v[10:13], off offset:8
.LBB5_530:
	s_or_b32 exec_lo, exec_lo, s11
	s_lshl_b64 s[8:9], s[8:9], 12
	v_and_or_b32 v0, 0xffffff1f, v0, 32
	v_add_co_u32 v6, vcc_lo, v6, s8
	v_add_co_ci_u32_e64 v7, null, s9, v7, vcc_lo
	s_mov_b32 s8, 0
	v_readfirstlane_b32 s12, v6
	s_mov_b32 s11, s8
	v_add_co_u32 v6, vcc_lo, v6, v30
	s_mov_b32 s9, s8
	s_mov_b32 s10, s8
	v_mov_b32_e32 v3, v2
	v_readfirstlane_b32 s13, v7
	v_mov_b32_e32 v13, s11
	v_add_co_ci_u32_e64 v7, null, 0, v7, vcc_lo
	v_mov_b32_e32 v12, s10
	v_mov_b32_e32 v11, s9
	;; [unrolled: 1-line block ×3, first 2 shown]
	global_store_dwordx4 v30, v[0:3], s[12:13]
	global_store_dwordx4 v30, v[10:13], s[12:13] offset:16
	global_store_dwordx4 v30, v[10:13], s[12:13] offset:32
	;; [unrolled: 1-line block ×3, first 2 shown]
	s_and_saveexec_b32 s8, s1
	s_cbranch_execz .LBB5_538
; %bb.531:
	v_mov_b32_e32 v10, 0
	v_mov_b32_e32 v11, s6
	;; [unrolled: 1-line block ×3, first 2 shown]
	s_clause 0x1
	global_load_dwordx2 v[13:14], v10, s[2:3] offset:32 glc dlc
	global_load_dwordx2 v[0:1], v10, s[2:3] offset:40
	s_waitcnt vmcnt(0)
	v_readfirstlane_b32 s10, v0
	v_readfirstlane_b32 s11, v1
	s_and_b64 s[10:11], s[10:11], s[6:7]
	s_mul_i32 s9, s11, 24
	s_mul_hi_u32 s11, s10, 24
	s_mul_i32 s10, s10, 24
	s_add_i32 s11, s11, s9
	v_add_co_u32 v4, vcc_lo, v4, s10
	v_add_co_ci_u32_e64 v5, null, s11, v5, vcc_lo
	s_mov_b32 s9, exec_lo
	global_store_dwordx2 v[4:5], v[13:14], off
	s_waitcnt_vscnt null, 0x0
	global_atomic_cmpswap_x2 v[2:3], v10, v[11:14], s[2:3] offset:32 glc
	s_waitcnt vmcnt(0)
	v_cmpx_ne_u64_e64 v[2:3], v[13:14]
	s_cbranch_execz .LBB5_534
; %bb.532:
	s_mov_b32 s10, 0
.LBB5_533:                              ; =>This Inner Loop Header: Depth=1
	v_mov_b32_e32 v0, s6
	v_mov_b32_e32 v1, s7
	s_sleep 1
	global_store_dwordx2 v[4:5], v[2:3], off
	s_waitcnt_vscnt null, 0x0
	global_atomic_cmpswap_x2 v[0:1], v10, v[0:3], s[2:3] offset:32 glc
	s_waitcnt vmcnt(0)
	v_cmp_eq_u64_e32 vcc_lo, v[0:1], v[2:3]
	v_mov_b32_e32 v3, v1
	v_mov_b32_e32 v2, v0
	s_or_b32 s10, vcc_lo, s10
	s_andn2_b32 exec_lo, exec_lo, s10
	s_cbranch_execnz .LBB5_533
.LBB5_534:
	s_or_b32 exec_lo, exec_lo, s9
	v_mov_b32_e32 v3, 0
	s_mov_b32 s10, exec_lo
	s_mov_b32 s9, exec_lo
	v_mbcnt_lo_u32_b32 v2, s10, 0
	global_load_dwordx2 v[0:1], v3, s[2:3] offset:16
	v_cmpx_eq_u32_e32 0, v2
	s_cbranch_execz .LBB5_536
; %bb.535:
	s_bcnt1_i32_b32 s10, s10
	v_mov_b32_e32 v2, s10
	s_waitcnt vmcnt(0)
	global_atomic_add_x2 v[0:1], v[2:3], off offset:8
.LBB5_536:
	s_or_b32 exec_lo, exec_lo, s9
	s_waitcnt vmcnt(0)
	global_load_dwordx2 v[2:3], v[0:1], off offset:16
	s_waitcnt vmcnt(0)
	v_cmp_eq_u64_e32 vcc_lo, 0, v[2:3]
	s_cbranch_vccnz .LBB5_538
; %bb.537:
	global_load_dword v0, v[0:1], off offset:24
	v_mov_b32_e32 v1, 0
	s_waitcnt vmcnt(0)
	v_readfirstlane_b32 s9, v0
	s_waitcnt_vscnt null, 0x0
	global_store_dwordx2 v[2:3], v[0:1], off
	s_and_b32 m0, s9, 0x7fffff
	s_sendmsg sendmsg(MSG_INTERRUPT)
.LBB5_538:
	s_or_b32 exec_lo, exec_lo, s8
	s_branch .LBB5_542
	.p2align	6
.LBB5_539:                              ;   in Loop: Header=BB5_542 Depth=1
	s_or_b32 exec_lo, exec_lo, s8
	v_readfirstlane_b32 s8, v0
	s_cmp_eq_u32 s8, 0
	s_cbranch_scc1 .LBB5_541
; %bb.540:                              ;   in Loop: Header=BB5_542 Depth=1
	s_sleep 1
	s_cbranch_execnz .LBB5_542
	s_branch .LBB5_544
	.p2align	6
.LBB5_541:
	s_branch .LBB5_544
.LBB5_542:                              ; =>This Inner Loop Header: Depth=1
	v_mov_b32_e32 v0, 1
	s_and_saveexec_b32 s8, s1
	s_cbranch_execz .LBB5_539
; %bb.543:                              ;   in Loop: Header=BB5_542 Depth=1
	global_load_dword v0, v[8:9], off offset:20 glc dlc
	s_waitcnt vmcnt(0)
	buffer_gl1_inv
	buffer_gl0_inv
	v_and_b32_e32 v0, 1, v0
	s_branch .LBB5_539
.LBB5_544:
	global_load_dwordx2 v[2:3], v[6:7], off
	s_and_saveexec_b32 s8, s1
	s_cbranch_execz .LBB5_548
; %bb.545:
	v_mov_b32_e32 v8, 0
	s_clause 0x2
	global_load_dwordx2 v[0:1], v8, s[2:3] offset:40
	global_load_dwordx2 v[11:12], v8, s[2:3] offset:24 glc dlc
	global_load_dwordx2 v[4:5], v8, s[2:3]
	s_waitcnt vmcnt(2)
	v_readfirstlane_b32 s10, v0
	v_readfirstlane_b32 s11, v1
	s_add_u32 s1, s10, 1
	s_addc_u32 s9, s11, 0
	s_add_u32 s6, s1, s6
	s_addc_u32 s7, s9, s7
	s_cmp_eq_u64 s[6:7], 0
	s_cselect_b32 s7, s9, s7
	s_cselect_b32 s6, s1, s6
	v_mov_b32_e32 v10, s7
	s_and_b64 s[10:11], s[6:7], s[10:11]
	v_mov_b32_e32 v9, s6
	s_mul_i32 s1, s11, 24
	s_mul_hi_u32 s9, s10, 24
	s_mul_i32 s10, s10, 24
	s_add_i32 s9, s9, s1
	s_waitcnt vmcnt(0)
	v_add_co_u32 v0, vcc_lo, v4, s10
	v_add_co_ci_u32_e64 v1, null, s9, v5, vcc_lo
	global_store_dwordx2 v[0:1], v[11:12], off
	s_waitcnt_vscnt null, 0x0
	global_atomic_cmpswap_x2 v[6:7], v8, v[9:12], s[2:3] offset:24 glc
	s_waitcnt vmcnt(0)
	v_cmp_ne_u64_e32 vcc_lo, v[6:7], v[11:12]
	s_and_b32 exec_lo, exec_lo, vcc_lo
	s_cbranch_execz .LBB5_548
; %bb.546:
	s_mov_b32 s1, 0
.LBB5_547:                              ; =>This Inner Loop Header: Depth=1
	v_mov_b32_e32 v4, s6
	v_mov_b32_e32 v5, s7
	s_sleep 1
	global_store_dwordx2 v[0:1], v[6:7], off
	s_waitcnt_vscnt null, 0x0
	global_atomic_cmpswap_x2 v[4:5], v8, v[4:7], s[2:3] offset:24 glc
	s_waitcnt vmcnt(0)
	v_cmp_eq_u64_e32 vcc_lo, v[4:5], v[6:7]
	v_mov_b32_e32 v7, v5
	v_mov_b32_e32 v6, v4
	s_or_b32 s1, vcc_lo, s1
	s_andn2_b32 exec_lo, exec_lo, s1
	s_cbranch_execnz .LBB5_547
.LBB5_548:
	s_or_b32 exec_lo, exec_lo, s8
.LBB5_549:
	v_readfirstlane_b32 s1, v31
	s_waitcnt vmcnt(0)
	v_mov_b32_e32 v0, 0
	v_mov_b32_e32 v1, 0
	v_cmp_eq_u32_e64 s1, s1, v31
	s_and_saveexec_b32 s6, s1
	s_cbranch_execz .LBB5_555
; %bb.550:
	v_mov_b32_e32 v4, 0
	s_mov_b32 s7, exec_lo
	global_load_dwordx2 v[7:8], v4, s[2:3] offset:24 glc dlc
	s_waitcnt vmcnt(0)
	buffer_gl1_inv
	buffer_gl0_inv
	s_clause 0x1
	global_load_dwordx2 v[0:1], v4, s[2:3] offset:40
	global_load_dwordx2 v[5:6], v4, s[2:3]
	s_waitcnt vmcnt(1)
	v_and_b32_e32 v1, v1, v8
	v_and_b32_e32 v0, v0, v7
	v_mul_lo_u32 v1, v1, 24
	v_mul_hi_u32 v9, v0, 24
	v_mul_lo_u32 v0, v0, 24
	v_add_nc_u32_e32 v1, v9, v1
	s_waitcnt vmcnt(0)
	v_add_co_u32 v0, vcc_lo, v5, v0
	v_add_co_ci_u32_e64 v1, null, v6, v1, vcc_lo
	global_load_dwordx2 v[5:6], v[0:1], off glc dlc
	s_waitcnt vmcnt(0)
	global_atomic_cmpswap_x2 v[0:1], v4, v[5:8], s[2:3] offset:24 glc
	s_waitcnt vmcnt(0)
	buffer_gl1_inv
	buffer_gl0_inv
	v_cmpx_ne_u64_e64 v[0:1], v[7:8]
	s_cbranch_execz .LBB5_554
; %bb.551:
	s_mov_b32 s8, 0
	.p2align	6
.LBB5_552:                              ; =>This Inner Loop Header: Depth=1
	s_sleep 1
	s_clause 0x1
	global_load_dwordx2 v[5:6], v4, s[2:3] offset:40
	global_load_dwordx2 v[9:10], v4, s[2:3]
	v_mov_b32_e32 v8, v1
	v_mov_b32_e32 v7, v0
	s_waitcnt vmcnt(1)
	v_and_b32_e32 v0, v5, v7
	v_and_b32_e32 v5, v6, v8
	s_waitcnt vmcnt(0)
	v_mad_u64_u32 v[0:1], null, v0, 24, v[9:10]
	v_mad_u64_u32 v[5:6], null, v5, 24, v[1:2]
	v_mov_b32_e32 v1, v5
	global_load_dwordx2 v[5:6], v[0:1], off glc dlc
	s_waitcnt vmcnt(0)
	global_atomic_cmpswap_x2 v[0:1], v4, v[5:8], s[2:3] offset:24 glc
	s_waitcnt vmcnt(0)
	buffer_gl1_inv
	buffer_gl0_inv
	v_cmp_eq_u64_e32 vcc_lo, v[0:1], v[7:8]
	s_or_b32 s8, vcc_lo, s8
	s_andn2_b32 exec_lo, exec_lo, s8
	s_cbranch_execnz .LBB5_552
; %bb.553:
	s_or_b32 exec_lo, exec_lo, s8
.LBB5_554:
	s_or_b32 exec_lo, exec_lo, s7
.LBB5_555:
	s_or_b32 exec_lo, exec_lo, s6
	v_mov_b32_e32 v5, 0
	v_readfirstlane_b32 s7, v1
	v_readfirstlane_b32 s6, v0
	s_mov_b32 s10, exec_lo
	s_clause 0x1
	global_load_dwordx2 v[10:11], v5, s[2:3] offset:40
	global_load_dwordx4 v[6:9], v5, s[2:3]
	s_waitcnt vmcnt(1)
	v_readfirstlane_b32 s8, v10
	v_readfirstlane_b32 s9, v11
	s_and_b64 s[8:9], s[8:9], s[6:7]
	s_mul_i32 s11, s9, 24
	s_mul_hi_u32 s12, s8, 24
	s_mul_i32 s13, s8, 24
	s_add_i32 s12, s12, s11
	s_waitcnt vmcnt(0)
	v_add_co_u32 v10, vcc_lo, v6, s13
	v_add_co_ci_u32_e64 v11, null, s12, v7, vcc_lo
	s_and_saveexec_b32 s11, s1
	s_cbranch_execz .LBB5_557
; %bb.556:
	v_mov_b32_e32 v4, s10
	v_mov_b32_e32 v13, v5
	;; [unrolled: 1-line block ×5, first 2 shown]
	global_store_dwordx4 v[10:11], v[12:15], off offset:8
.LBB5_557:
	s_or_b32 exec_lo, exec_lo, s11
	s_lshl_b64 s[8:9], s[8:9], 12
	v_and_or_b32 v2, 0xffffff1f, v2, 32
	v_add_co_u32 v0, vcc_lo, v8, s8
	v_add_co_ci_u32_e64 v1, null, s9, v9, vcc_lo
	s_mov_b32 s8, 0
	v_add_co_u32 v8, vcc_lo, v0, v30
	s_mov_b32 s11, s8
	s_mov_b32 s9, s8
	;; [unrolled: 1-line block ×3, first 2 shown]
	v_mov_b32_e32 v4, 15
	v_readfirstlane_b32 s12, v0
	v_readfirstlane_b32 s13, v1
	v_mov_b32_e32 v15, s11
	v_add_co_ci_u32_e64 v9, null, 0, v1, vcc_lo
	v_mov_b32_e32 v14, s10
	v_mov_b32_e32 v13, s9
	;; [unrolled: 1-line block ×3, first 2 shown]
	global_store_dwordx4 v30, v[2:5], s[12:13]
	global_store_dwordx4 v30, v[12:15], s[12:13] offset:16
	global_store_dwordx4 v30, v[12:15], s[12:13] offset:32
	;; [unrolled: 1-line block ×3, first 2 shown]
	s_and_saveexec_b32 s8, s1
	s_cbranch_execz .LBB5_565
; %bb.558:
	v_mov_b32_e32 v12, 0
	v_mov_b32_e32 v13, s6
	v_mov_b32_e32 v14, s7
	s_clause 0x1
	global_load_dwordx2 v[15:16], v12, s[2:3] offset:32 glc dlc
	global_load_dwordx2 v[0:1], v12, s[2:3] offset:40
	s_waitcnt vmcnt(0)
	v_readfirstlane_b32 s10, v0
	v_readfirstlane_b32 s11, v1
	s_and_b64 s[10:11], s[10:11], s[6:7]
	s_mul_i32 s9, s11, 24
	s_mul_hi_u32 s11, s10, 24
	s_mul_i32 s10, s10, 24
	s_add_i32 s11, s11, s9
	v_add_co_u32 v4, vcc_lo, v6, s10
	v_add_co_ci_u32_e64 v5, null, s11, v7, vcc_lo
	s_mov_b32 s9, exec_lo
	global_store_dwordx2 v[4:5], v[15:16], off
	s_waitcnt_vscnt null, 0x0
	global_atomic_cmpswap_x2 v[2:3], v12, v[13:16], s[2:3] offset:32 glc
	s_waitcnt vmcnt(0)
	v_cmpx_ne_u64_e64 v[2:3], v[15:16]
	s_cbranch_execz .LBB5_561
; %bb.559:
	s_mov_b32 s10, 0
.LBB5_560:                              ; =>This Inner Loop Header: Depth=1
	v_mov_b32_e32 v0, s6
	v_mov_b32_e32 v1, s7
	s_sleep 1
	global_store_dwordx2 v[4:5], v[2:3], off
	s_waitcnt_vscnt null, 0x0
	global_atomic_cmpswap_x2 v[0:1], v12, v[0:3], s[2:3] offset:32 glc
	s_waitcnt vmcnt(0)
	v_cmp_eq_u64_e32 vcc_lo, v[0:1], v[2:3]
	v_mov_b32_e32 v3, v1
	v_mov_b32_e32 v2, v0
	s_or_b32 s10, vcc_lo, s10
	s_andn2_b32 exec_lo, exec_lo, s10
	s_cbranch_execnz .LBB5_560
.LBB5_561:
	s_or_b32 exec_lo, exec_lo, s9
	v_mov_b32_e32 v3, 0
	s_mov_b32 s10, exec_lo
	s_mov_b32 s9, exec_lo
	v_mbcnt_lo_u32_b32 v2, s10, 0
	global_load_dwordx2 v[0:1], v3, s[2:3] offset:16
	v_cmpx_eq_u32_e32 0, v2
	s_cbranch_execz .LBB5_563
; %bb.562:
	s_bcnt1_i32_b32 s10, s10
	v_mov_b32_e32 v2, s10
	s_waitcnt vmcnt(0)
	global_atomic_add_x2 v[0:1], v[2:3], off offset:8
.LBB5_563:
	s_or_b32 exec_lo, exec_lo, s9
	s_waitcnt vmcnt(0)
	global_load_dwordx2 v[2:3], v[0:1], off offset:16
	s_waitcnt vmcnt(0)
	v_cmp_eq_u64_e32 vcc_lo, 0, v[2:3]
	s_cbranch_vccnz .LBB5_565
; %bb.564:
	global_load_dword v0, v[0:1], off offset:24
	v_mov_b32_e32 v1, 0
	s_waitcnt vmcnt(0)
	v_readfirstlane_b32 s9, v0
	s_waitcnt_vscnt null, 0x0
	global_store_dwordx2 v[2:3], v[0:1], off
	s_and_b32 m0, s9, 0x7fffff
	s_sendmsg sendmsg(MSG_INTERRUPT)
.LBB5_565:
	s_or_b32 exec_lo, exec_lo, s8
	s_branch .LBB5_569
	.p2align	6
.LBB5_566:                              ;   in Loop: Header=BB5_569 Depth=1
	s_or_b32 exec_lo, exec_lo, s8
	v_readfirstlane_b32 s8, v0
	s_cmp_eq_u32 s8, 0
	s_cbranch_scc1 .LBB5_568
; %bb.567:                              ;   in Loop: Header=BB5_569 Depth=1
	s_sleep 1
	s_cbranch_execnz .LBB5_569
	s_branch .LBB5_571
	.p2align	6
.LBB5_568:
	s_branch .LBB5_571
.LBB5_569:                              ; =>This Inner Loop Header: Depth=1
	v_mov_b32_e32 v0, 1
	s_and_saveexec_b32 s8, s1
	s_cbranch_execz .LBB5_566
; %bb.570:                              ;   in Loop: Header=BB5_569 Depth=1
	global_load_dword v0, v[10:11], off offset:20 glc dlc
	s_waitcnt vmcnt(0)
	buffer_gl1_inv
	buffer_gl0_inv
	v_and_b32_e32 v0, 1, v0
	s_branch .LBB5_566
.LBB5_571:
	global_load_dwordx2 v[0:1], v[8:9], off
	s_and_saveexec_b32 s8, s1
	s_cbranch_execz .LBB5_575
; %bb.572:
	v_mov_b32_e32 v8, 0
	s_clause 0x2
	global_load_dwordx2 v[2:3], v8, s[2:3] offset:40
	global_load_dwordx2 v[11:12], v8, s[2:3] offset:24 glc dlc
	global_load_dwordx2 v[4:5], v8, s[2:3]
	s_waitcnt vmcnt(2)
	v_readfirstlane_b32 s10, v2
	v_readfirstlane_b32 s11, v3
	s_add_u32 s1, s10, 1
	s_addc_u32 s9, s11, 0
	s_add_u32 s6, s1, s6
	s_addc_u32 s7, s9, s7
	s_cmp_eq_u64 s[6:7], 0
	s_cselect_b32 s7, s9, s7
	s_cselect_b32 s6, s1, s6
	v_mov_b32_e32 v10, s7
	s_and_b64 s[10:11], s[6:7], s[10:11]
	v_mov_b32_e32 v9, s6
	s_mul_i32 s1, s11, 24
	s_mul_hi_u32 s9, s10, 24
	s_mul_i32 s10, s10, 24
	s_add_i32 s9, s9, s1
	s_waitcnt vmcnt(0)
	v_add_co_u32 v6, vcc_lo, v4, s10
	v_add_co_ci_u32_e64 v7, null, s9, v5, vcc_lo
	global_store_dwordx2 v[6:7], v[11:12], off
	s_waitcnt_vscnt null, 0x0
	global_atomic_cmpswap_x2 v[4:5], v8, v[9:12], s[2:3] offset:24 glc
	s_waitcnt vmcnt(0)
	v_cmp_ne_u64_e32 vcc_lo, v[4:5], v[11:12]
	s_and_b32 exec_lo, exec_lo, vcc_lo
	s_cbranch_execz .LBB5_575
; %bb.573:
	s_mov_b32 s1, 0
.LBB5_574:                              ; =>This Inner Loop Header: Depth=1
	v_mov_b32_e32 v2, s6
	v_mov_b32_e32 v3, s7
	s_sleep 1
	global_store_dwordx2 v[6:7], v[4:5], off
	s_waitcnt_vscnt null, 0x0
	global_atomic_cmpswap_x2 v[2:3], v8, v[2:5], s[2:3] offset:24 glc
	s_waitcnt vmcnt(0)
	v_cmp_eq_u64_e32 vcc_lo, v[2:3], v[4:5]
	v_mov_b32_e32 v5, v3
	v_mov_b32_e32 v4, v2
	s_or_b32 s1, vcc_lo, s1
	s_andn2_b32 exec_lo, exec_lo, s1
	s_cbranch_execnz .LBB5_574
.LBB5_575:
	s_or_b32 exec_lo, exec_lo, s8
	v_readfirstlane_b32 s1, v31
	v_mov_b32_e32 v8, 0
	v_mov_b32_e32 v9, 0
	v_cmp_eq_u32_e64 s1, s1, v31
	s_and_saveexec_b32 s6, s1
	s_cbranch_execz .LBB5_581
; %bb.576:
	v_mov_b32_e32 v2, 0
	s_mov_b32 s7, exec_lo
	global_load_dwordx2 v[5:6], v2, s[2:3] offset:24 glc dlc
	s_waitcnt vmcnt(0)
	buffer_gl1_inv
	buffer_gl0_inv
	s_clause 0x1
	global_load_dwordx2 v[3:4], v2, s[2:3] offset:40
	global_load_dwordx2 v[7:8], v2, s[2:3]
	s_waitcnt vmcnt(1)
	v_and_b32_e32 v4, v4, v6
	v_and_b32_e32 v3, v3, v5
	v_mul_lo_u32 v4, v4, 24
	v_mul_hi_u32 v9, v3, 24
	v_mul_lo_u32 v3, v3, 24
	v_add_nc_u32_e32 v4, v9, v4
	s_waitcnt vmcnt(0)
	v_add_co_u32 v3, vcc_lo, v7, v3
	v_add_co_ci_u32_e64 v4, null, v8, v4, vcc_lo
	global_load_dwordx2 v[3:4], v[3:4], off glc dlc
	s_waitcnt vmcnt(0)
	global_atomic_cmpswap_x2 v[8:9], v2, v[3:6], s[2:3] offset:24 glc
	s_waitcnt vmcnt(0)
	buffer_gl1_inv
	buffer_gl0_inv
	v_cmpx_ne_u64_e64 v[8:9], v[5:6]
	s_cbranch_execz .LBB5_580
; %bb.577:
	s_mov_b32 s8, 0
	.p2align	6
.LBB5_578:                              ; =>This Inner Loop Header: Depth=1
	s_sleep 1
	s_clause 0x1
	global_load_dwordx2 v[3:4], v2, s[2:3] offset:40
	global_load_dwordx2 v[10:11], v2, s[2:3]
	v_mov_b32_e32 v5, v8
	v_mov_b32_e32 v6, v9
	s_waitcnt vmcnt(1)
	v_and_b32_e32 v3, v3, v5
	v_and_b32_e32 v4, v4, v6
	s_waitcnt vmcnt(0)
	v_mad_u64_u32 v[7:8], null, v3, 24, v[10:11]
	v_mov_b32_e32 v3, v8
	v_mad_u64_u32 v[3:4], null, v4, 24, v[3:4]
	v_mov_b32_e32 v8, v3
	global_load_dwordx2 v[3:4], v[7:8], off glc dlc
	s_waitcnt vmcnt(0)
	global_atomic_cmpswap_x2 v[8:9], v2, v[3:6], s[2:3] offset:24 glc
	s_waitcnt vmcnt(0)
	buffer_gl1_inv
	buffer_gl0_inv
	v_cmp_eq_u64_e32 vcc_lo, v[8:9], v[5:6]
	s_or_b32 s8, vcc_lo, s8
	s_andn2_b32 exec_lo, exec_lo, s8
	s_cbranch_execnz .LBB5_578
; %bb.579:
	s_or_b32 exec_lo, exec_lo, s8
.LBB5_580:
	s_or_b32 exec_lo, exec_lo, s7
.LBB5_581:
	s_or_b32 exec_lo, exec_lo, s6
	v_mov_b32_e32 v3, 0
	v_readfirstlane_b32 s7, v9
	v_readfirstlane_b32 s6, v8
	s_mov_b32 s10, exec_lo
	s_clause 0x1
	global_load_dwordx2 v[10:11], v3, s[2:3] offset:40
	global_load_dwordx4 v[4:7], v3, s[2:3]
	s_waitcnt vmcnt(1)
	v_readfirstlane_b32 s8, v10
	v_readfirstlane_b32 s9, v11
	s_and_b64 s[8:9], s[8:9], s[6:7]
	s_mul_i32 s11, s9, 24
	s_mul_hi_u32 s12, s8, 24
	s_mul_i32 s13, s8, 24
	s_add_i32 s12, s12, s11
	s_waitcnt vmcnt(0)
	v_add_co_u32 v8, vcc_lo, v4, s13
	v_add_co_ci_u32_e64 v9, null, s12, v5, vcc_lo
	s_and_saveexec_b32 s11, s1
	s_cbranch_execz .LBB5_583
; %bb.582:
	v_mov_b32_e32 v2, s10
	v_mov_b32_e32 v11, v3
	;; [unrolled: 1-line block ×5, first 2 shown]
	global_store_dwordx4 v[8:9], v[10:13], off offset:8
.LBB5_583:
	s_or_b32 exec_lo, exec_lo, s11
	s_lshl_b64 s[8:9], s[8:9], 12
	v_cndmask_b32_e64 v2, -1, v29, s0
	v_add_co_u32 v6, vcc_lo, v6, s8
	v_add_co_ci_u32_e64 v7, null, s9, v7, vcc_lo
	s_mov_b32 s8, 0
	v_add_co_u32 v10, vcc_lo, v6, v30
	s_mov_b32 s11, s8
	s_mov_b32 s9, s8
	;; [unrolled: 1-line block ×3, first 2 shown]
	v_and_or_b32 v0, 0xffffff1f, v0, 32
	v_readfirstlane_b32 s12, v6
	v_readfirstlane_b32 s13, v7
	v_mov_b32_e32 v15, s11
	v_add_co_ci_u32_e64 v11, null, 0, v7, vcc_lo
	v_mov_b32_e32 v14, s10
	v_mov_b32_e32 v13, s9
	;; [unrolled: 1-line block ×3, first 2 shown]
	global_store_dwordx4 v30, v[0:3], s[12:13]
	global_store_dwordx4 v30, v[12:15], s[12:13] offset:16
	global_store_dwordx4 v30, v[12:15], s[12:13] offset:32
	;; [unrolled: 1-line block ×3, first 2 shown]
	s_and_saveexec_b32 s0, s1
	s_cbranch_execz .LBB5_591
; %bb.584:
	v_mov_b32_e32 v7, 0
	v_mov_b32_e32 v12, s6
	;; [unrolled: 1-line block ×3, first 2 shown]
	s_clause 0x1
	global_load_dwordx2 v[14:15], v7, s[2:3] offset:32 glc dlc
	global_load_dwordx2 v[0:1], v7, s[2:3] offset:40
	s_waitcnt vmcnt(0)
	v_readfirstlane_b32 s8, v0
	v_readfirstlane_b32 s9, v1
	s_and_b64 s[8:9], s[8:9], s[6:7]
	s_mul_i32 s9, s9, 24
	s_mul_hi_u32 s10, s8, 24
	s_mul_i32 s8, s8, 24
	s_add_i32 s10, s10, s9
	v_add_co_u32 v0, vcc_lo, v4, s8
	v_add_co_ci_u32_e64 v1, null, s10, v5, vcc_lo
	s_mov_b32 s8, exec_lo
	global_store_dwordx2 v[0:1], v[14:15], off
	s_waitcnt_vscnt null, 0x0
	global_atomic_cmpswap_x2 v[5:6], v7, v[12:15], s[2:3] offset:32 glc
	s_waitcnt vmcnt(0)
	v_cmpx_ne_u64_e64 v[5:6], v[14:15]
	s_cbranch_execz .LBB5_587
; %bb.585:
	s_mov_b32 s9, 0
.LBB5_586:                              ; =>This Inner Loop Header: Depth=1
	v_mov_b32_e32 v3, s6
	v_mov_b32_e32 v4, s7
	s_sleep 1
	global_store_dwordx2 v[0:1], v[5:6], off
	s_waitcnt_vscnt null, 0x0
	global_atomic_cmpswap_x2 v[3:4], v7, v[3:6], s[2:3] offset:32 glc
	s_waitcnt vmcnt(0)
	v_cmp_eq_u64_e32 vcc_lo, v[3:4], v[5:6]
	v_mov_b32_e32 v6, v4
	v_mov_b32_e32 v5, v3
	s_or_b32 s9, vcc_lo, s9
	s_andn2_b32 exec_lo, exec_lo, s9
	s_cbranch_execnz .LBB5_586
.LBB5_587:
	s_or_b32 exec_lo, exec_lo, s8
	v_mov_b32_e32 v4, 0
	s_mov_b32 s9, exec_lo
	s_mov_b32 s8, exec_lo
	v_mbcnt_lo_u32_b32 v3, s9, 0
	global_load_dwordx2 v[0:1], v4, s[2:3] offset:16
	v_cmpx_eq_u32_e32 0, v3
	s_cbranch_execz .LBB5_589
; %bb.588:
	s_bcnt1_i32_b32 s9, s9
	v_mov_b32_e32 v3, s9
	s_waitcnt vmcnt(0)
	global_atomic_add_x2 v[0:1], v[3:4], off offset:8
.LBB5_589:
	s_or_b32 exec_lo, exec_lo, s8
	s_waitcnt vmcnt(0)
	global_load_dwordx2 v[3:4], v[0:1], off offset:16
	s_waitcnt vmcnt(0)
	v_cmp_eq_u64_e32 vcc_lo, 0, v[3:4]
	s_cbranch_vccnz .LBB5_591
; %bb.590:
	global_load_dword v0, v[0:1], off offset:24
	v_mov_b32_e32 v1, 0
	s_waitcnt vmcnt(0)
	v_readfirstlane_b32 s8, v0
	s_waitcnt_vscnt null, 0x0
	global_store_dwordx2 v[3:4], v[0:1], off
	s_and_b32 m0, s8, 0x7fffff
	s_sendmsg sendmsg(MSG_INTERRUPT)
.LBB5_591:
	s_or_b32 exec_lo, exec_lo, s0
	s_branch .LBB5_595
	.p2align	6
.LBB5_592:                              ;   in Loop: Header=BB5_595 Depth=1
	s_or_b32 exec_lo, exec_lo, s0
	v_readfirstlane_b32 s0, v0
	s_cmp_eq_u32 s0, 0
	s_cbranch_scc1 .LBB5_594
; %bb.593:                              ;   in Loop: Header=BB5_595 Depth=1
	s_sleep 1
	s_cbranch_execnz .LBB5_595
	s_branch .LBB5_597
	.p2align	6
.LBB5_594:
	s_branch .LBB5_597
.LBB5_595:                              ; =>This Inner Loop Header: Depth=1
	v_mov_b32_e32 v0, 1
	s_and_saveexec_b32 s0, s1
	s_cbranch_execz .LBB5_592
; %bb.596:                              ;   in Loop: Header=BB5_595 Depth=1
	global_load_dword v0, v[8:9], off offset:20 glc dlc
	s_waitcnt vmcnt(0)
	buffer_gl1_inv
	buffer_gl0_inv
	v_and_b32_e32 v0, 1, v0
	s_branch .LBB5_592
.LBB5_597:
	global_load_dwordx2 v[3:4], v[10:11], off
	s_and_saveexec_b32 s8, s1
	s_cbranch_execz .LBB5_601
; %bb.598:
	v_mov_b32_e32 v9, 0
	s_clause 0x2
	global_load_dwordx2 v[0:1], v9, s[2:3] offset:40
	global_load_dwordx2 v[12:13], v9, s[2:3] offset:24 glc dlc
	global_load_dwordx2 v[5:6], v9, s[2:3]
	s_waitcnt vmcnt(2)
	v_readfirstlane_b32 s10, v0
	v_readfirstlane_b32 s11, v1
	s_add_u32 s9, s10, 1
	s_addc_u32 s12, s11, 0
	s_add_u32 s0, s9, s6
	s_addc_u32 s1, s12, s7
	s_cmp_eq_u64 s[0:1], 0
	s_cselect_b32 s1, s12, s1
	s_cselect_b32 s0, s9, s0
	v_mov_b32_e32 v11, s1
	s_and_b64 s[6:7], s[0:1], s[10:11]
	v_mov_b32_e32 v10, s0
	s_mul_i32 s7, s7, 24
	s_mul_hi_u32 s9, s6, 24
	s_mul_i32 s6, s6, 24
	s_add_i32 s9, s9, s7
	s_waitcnt vmcnt(0)
	v_add_co_u32 v0, vcc_lo, v5, s6
	v_add_co_ci_u32_e64 v1, null, s9, v6, vcc_lo
	global_store_dwordx2 v[0:1], v[12:13], off
	s_waitcnt_vscnt null, 0x0
	global_atomic_cmpswap_x2 v[7:8], v9, v[10:13], s[2:3] offset:24 glc
	s_waitcnt vmcnt(0)
	v_cmp_ne_u64_e32 vcc_lo, v[7:8], v[12:13]
	s_and_b32 exec_lo, exec_lo, vcc_lo
	s_cbranch_execz .LBB5_601
; %bb.599:
	s_mov_b32 s6, 0
.LBB5_600:                              ; =>This Inner Loop Header: Depth=1
	v_mov_b32_e32 v5, s0
	v_mov_b32_e32 v6, s1
	s_sleep 1
	global_store_dwordx2 v[0:1], v[7:8], off
	s_waitcnt_vscnt null, 0x0
	global_atomic_cmpswap_x2 v[5:6], v9, v[5:8], s[2:3] offset:24 glc
	s_waitcnt vmcnt(0)
	v_cmp_eq_u64_e32 vcc_lo, v[5:6], v[7:8]
	v_mov_b32_e32 v8, v6
	v_mov_b32_e32 v7, v5
	s_or_b32 s6, vcc_lo, s6
	s_andn2_b32 exec_lo, exec_lo, s6
	s_cbranch_execnz .LBB5_600
.LBB5_601:
	s_or_b32 exec_lo, exec_lo, s8
	v_readfirstlane_b32 s0, v31
	v_mov_b32_e32 v0, 0
	v_mov_b32_e32 v1, 0
	v_cmp_eq_u32_e64 s0, s0, v31
	s_and_saveexec_b32 s1, s0
	s_cbranch_execz .LBB5_607
; %bb.602:
	v_mov_b32_e32 v5, 0
	s_mov_b32 s6, exec_lo
	global_load_dwordx2 v[8:9], v5, s[2:3] offset:24 glc dlc
	s_waitcnt vmcnt(0)
	buffer_gl1_inv
	buffer_gl0_inv
	s_clause 0x1
	global_load_dwordx2 v[0:1], v5, s[2:3] offset:40
	global_load_dwordx2 v[6:7], v5, s[2:3]
	s_waitcnt vmcnt(1)
	v_and_b32_e32 v1, v1, v9
	v_and_b32_e32 v0, v0, v8
	v_mul_lo_u32 v1, v1, 24
	v_mul_hi_u32 v10, v0, 24
	v_mul_lo_u32 v0, v0, 24
	v_add_nc_u32_e32 v1, v10, v1
	s_waitcnt vmcnt(0)
	v_add_co_u32 v0, vcc_lo, v6, v0
	v_add_co_ci_u32_e64 v1, null, v7, v1, vcc_lo
	global_load_dwordx2 v[6:7], v[0:1], off glc dlc
	s_waitcnt vmcnt(0)
	global_atomic_cmpswap_x2 v[0:1], v5, v[6:9], s[2:3] offset:24 glc
	s_waitcnt vmcnt(0)
	buffer_gl1_inv
	buffer_gl0_inv
	v_cmpx_ne_u64_e64 v[0:1], v[8:9]
	s_cbranch_execz .LBB5_606
; %bb.603:
	s_mov_b32 s7, 0
	.p2align	6
.LBB5_604:                              ; =>This Inner Loop Header: Depth=1
	s_sleep 1
	s_clause 0x1
	global_load_dwordx2 v[6:7], v5, s[2:3] offset:40
	global_load_dwordx2 v[10:11], v5, s[2:3]
	v_mov_b32_e32 v9, v1
	v_mov_b32_e32 v8, v0
	s_waitcnt vmcnt(1)
	v_and_b32_e32 v0, v6, v8
	v_and_b32_e32 v6, v7, v9
	s_waitcnt vmcnt(0)
	v_mad_u64_u32 v[0:1], null, v0, 24, v[10:11]
	v_mad_u64_u32 v[6:7], null, v6, 24, v[1:2]
	v_mov_b32_e32 v1, v6
	global_load_dwordx2 v[6:7], v[0:1], off glc dlc
	s_waitcnt vmcnt(0)
	global_atomic_cmpswap_x2 v[0:1], v5, v[6:9], s[2:3] offset:24 glc
	s_waitcnt vmcnt(0)
	buffer_gl1_inv
	buffer_gl0_inv
	v_cmp_eq_u64_e32 vcc_lo, v[0:1], v[8:9]
	s_or_b32 s7, vcc_lo, s7
	s_andn2_b32 exec_lo, exec_lo, s7
	s_cbranch_execnz .LBB5_604
; %bb.605:
	s_or_b32 exec_lo, exec_lo, s7
.LBB5_606:
	s_or_b32 exec_lo, exec_lo, s6
.LBB5_607:
	s_or_b32 exec_lo, exec_lo, s1
	v_mov_b32_e32 v6, 0
	v_readfirstlane_b32 s7, v1
	v_readfirstlane_b32 s6, v0
	s_mov_b32 s1, exec_lo
	s_clause 0x1
	global_load_dwordx2 v[11:12], v6, s[2:3] offset:40
	global_load_dwordx4 v[7:10], v6, s[2:3]
	s_waitcnt vmcnt(1)
	v_readfirstlane_b32 s8, v11
	v_readfirstlane_b32 s9, v12
	s_and_b64 s[8:9], s[8:9], s[6:7]
	s_mul_i32 s10, s9, 24
	s_mul_hi_u32 s11, s8, 24
	s_mul_i32 s12, s8, 24
	s_add_i32 s11, s11, s10
	s_waitcnt vmcnt(0)
	v_add_co_u32 v0, vcc_lo, v7, s12
	v_add_co_ci_u32_e64 v1, null, s11, v8, vcc_lo
	s_and_saveexec_b32 s10, s0
	s_cbranch_execz .LBB5_609
; %bb.608:
	v_mov_b32_e32 v5, s1
	v_mov_b32_e32 v12, v6
	;; [unrolled: 1-line block ×5, first 2 shown]
	global_store_dwordx4 v[0:1], v[11:14], off offset:8
.LBB5_609:
	s_or_b32 exec_lo, exec_lo, s10
	s_lshl_b64 s[8:9], s[8:9], 12
	v_lshrrev_b32_e32 v5, 4, v26
	v_add_co_u32 v9, vcc_lo, v9, s8
	v_add_co_ci_u32_e64 v11, null, s9, v10, vcc_lo
	s_mov_b32 s8, 0
	v_add_co_u32 v10, vcc_lo, v9, v30
	s_mov_b32 s11, s8
	s_mov_b32 s9, s8
	;; [unrolled: 1-line block ×3, first 2 shown]
	v_and_or_b32 v3, 0xffffff1f, v3, 32
	v_readfirstlane_b32 s12, v9
	v_readfirstlane_b32 s13, v11
	v_mov_b32_e32 v15, s11
	v_add_co_ci_u32_e64 v11, null, 0, v11, vcc_lo
	v_mov_b32_e32 v14, s10
	v_mov_b32_e32 v13, s9
	;; [unrolled: 1-line block ×3, first 2 shown]
	global_store_dwordx4 v30, v[3:6], s[12:13]
	global_store_dwordx4 v30, v[12:15], s[12:13] offset:16
	global_store_dwordx4 v30, v[12:15], s[12:13] offset:32
	;; [unrolled: 1-line block ×3, first 2 shown]
	s_and_saveexec_b32 s1, s0
	s_cbranch_execz .LBB5_617
; %bb.610:
	v_mov_b32_e32 v12, 0
	v_mov_b32_e32 v13, s6
	;; [unrolled: 1-line block ×3, first 2 shown]
	s_clause 0x1
	global_load_dwordx2 v[15:16], v12, s[2:3] offset:32 glc dlc
	global_load_dwordx2 v[3:4], v12, s[2:3] offset:40
	s_waitcnt vmcnt(0)
	v_readfirstlane_b32 s8, v3
	v_readfirstlane_b32 s9, v4
	s_and_b64 s[8:9], s[8:9], s[6:7]
	s_mul_i32 s9, s9, 24
	s_mul_hi_u32 s10, s8, 24
	s_mul_i32 s8, s8, 24
	s_add_i32 s10, s10, s9
	v_add_co_u32 v3, vcc_lo, v7, s8
	v_add_co_ci_u32_e64 v4, null, s10, v8, vcc_lo
	s_mov_b32 s8, exec_lo
	global_store_dwordx2 v[3:4], v[15:16], off
	s_waitcnt_vscnt null, 0x0
	global_atomic_cmpswap_x2 v[8:9], v12, v[13:16], s[2:3] offset:32 glc
	s_waitcnt vmcnt(0)
	v_cmpx_ne_u64_e64 v[8:9], v[15:16]
	s_cbranch_execz .LBB5_613
; %bb.611:
	s_mov_b32 s9, 0
.LBB5_612:                              ; =>This Inner Loop Header: Depth=1
	v_mov_b32_e32 v6, s6
	v_mov_b32_e32 v7, s7
	s_sleep 1
	global_store_dwordx2 v[3:4], v[8:9], off
	s_waitcnt_vscnt null, 0x0
	global_atomic_cmpswap_x2 v[6:7], v12, v[6:9], s[2:3] offset:32 glc
	s_waitcnt vmcnt(0)
	v_cmp_eq_u64_e32 vcc_lo, v[6:7], v[8:9]
	v_mov_b32_e32 v9, v7
	v_mov_b32_e32 v8, v6
	s_or_b32 s9, vcc_lo, s9
	s_andn2_b32 exec_lo, exec_lo, s9
	s_cbranch_execnz .LBB5_612
.LBB5_613:
	s_or_b32 exec_lo, exec_lo, s8
	v_mov_b32_e32 v7, 0
	s_mov_b32 s9, exec_lo
	s_mov_b32 s8, exec_lo
	v_mbcnt_lo_u32_b32 v6, s9, 0
	global_load_dwordx2 v[3:4], v7, s[2:3] offset:16
	v_cmpx_eq_u32_e32 0, v6
	s_cbranch_execz .LBB5_615
; %bb.614:
	s_bcnt1_i32_b32 s9, s9
	v_mov_b32_e32 v6, s9
	s_waitcnt vmcnt(0)
	global_atomic_add_x2 v[3:4], v[6:7], off offset:8
.LBB5_615:
	s_or_b32 exec_lo, exec_lo, s8
	s_waitcnt vmcnt(0)
	global_load_dwordx2 v[6:7], v[3:4], off offset:16
	s_waitcnt vmcnt(0)
	v_cmp_eq_u64_e32 vcc_lo, 0, v[6:7]
	s_cbranch_vccnz .LBB5_617
; %bb.616:
	global_load_dword v3, v[3:4], off offset:24
	v_mov_b32_e32 v4, 0
	s_waitcnt vmcnt(0)
	v_readfirstlane_b32 s8, v3
	s_waitcnt_vscnt null, 0x0
	global_store_dwordx2 v[6:7], v[3:4], off
	s_and_b32 m0, s8, 0x7fffff
	s_sendmsg sendmsg(MSG_INTERRUPT)
.LBB5_617:
	s_or_b32 exec_lo, exec_lo, s1
	s_branch .LBB5_621
	.p2align	6
.LBB5_618:                              ;   in Loop: Header=BB5_621 Depth=1
	s_or_b32 exec_lo, exec_lo, s1
	v_readfirstlane_b32 s1, v3
	s_cmp_eq_u32 s1, 0
	s_cbranch_scc1 .LBB5_620
; %bb.619:                              ;   in Loop: Header=BB5_621 Depth=1
	s_sleep 1
	s_cbranch_execnz .LBB5_621
	s_branch .LBB5_623
	.p2align	6
.LBB5_620:
	s_branch .LBB5_623
.LBB5_621:                              ; =>This Inner Loop Header: Depth=1
	v_mov_b32_e32 v3, 1
	s_and_saveexec_b32 s1, s0
	s_cbranch_execz .LBB5_618
; %bb.622:                              ;   in Loop: Header=BB5_621 Depth=1
	global_load_dword v3, v[0:1], off offset:20 glc dlc
	s_waitcnt vmcnt(0)
	buffer_gl1_inv
	buffer_gl0_inv
	v_and_b32_e32 v3, 1, v3
	s_branch .LBB5_618
.LBB5_623:
	global_load_dwordx2 v[6:7], v[10:11], off
	s_and_saveexec_b32 s8, s0
	s_cbranch_execz .LBB5_627
; %bb.624:
	v_mov_b32_e32 v3, 0
	s_clause 0x2
	global_load_dwordx2 v[0:1], v3, s[2:3] offset:40
	global_load_dwordx2 v[12:13], v3, s[2:3] offset:24 glc dlc
	global_load_dwordx2 v[8:9], v3, s[2:3]
	s_waitcnt vmcnt(2)
	v_readfirstlane_b32 s10, v0
	v_readfirstlane_b32 s11, v1
	s_add_u32 s9, s10, 1
	s_addc_u32 s12, s11, 0
	s_add_u32 s0, s9, s6
	s_addc_u32 s1, s12, s7
	s_cmp_eq_u64 s[0:1], 0
	s_cselect_b32 s1, s12, s1
	s_cselect_b32 s0, s9, s0
	v_mov_b32_e32 v11, s1
	s_and_b64 s[6:7], s[0:1], s[10:11]
	v_mov_b32_e32 v10, s0
	s_mul_i32 s7, s7, 24
	s_mul_hi_u32 s9, s6, 24
	s_mul_i32 s6, s6, 24
	s_add_i32 s9, s9, s7
	s_waitcnt vmcnt(0)
	v_add_co_u32 v0, vcc_lo, v8, s6
	v_add_co_ci_u32_e64 v1, null, s9, v9, vcc_lo
	global_store_dwordx2 v[0:1], v[12:13], off
	s_waitcnt_vscnt null, 0x0
	global_atomic_cmpswap_x2 v[10:11], v3, v[10:13], s[2:3] offset:24 glc
	s_waitcnt vmcnt(0)
	v_cmp_ne_u64_e32 vcc_lo, v[10:11], v[12:13]
	s_and_b32 exec_lo, exec_lo, vcc_lo
	s_cbranch_execz .LBB5_627
; %bb.625:
	s_mov_b32 s6, 0
.LBB5_626:                              ; =>This Inner Loop Header: Depth=1
	v_mov_b32_e32 v8, s0
	v_mov_b32_e32 v9, s1
	s_sleep 1
	global_store_dwordx2 v[0:1], v[10:11], off
	s_waitcnt_vscnt null, 0x0
	global_atomic_cmpswap_x2 v[8:9], v3, v[8:11], s[2:3] offset:24 glc
	s_waitcnt vmcnt(0)
	v_cmp_eq_u64_e32 vcc_lo, v[8:9], v[10:11]
	v_mov_b32_e32 v11, v9
	v_mov_b32_e32 v10, v8
	s_or_b32 s6, vcc_lo, s6
	s_andn2_b32 exec_lo, exec_lo, s6
	s_cbranch_execnz .LBB5_626
.LBB5_627:
	s_or_b32 exec_lo, exec_lo, s8
	v_readfirstlane_b32 s0, v31
	v_mov_b32_e32 v0, 0
	v_mov_b32_e32 v1, 0
	v_cmp_eq_u32_e64 s0, s0, v31
	s_and_saveexec_b32 s1, s0
	s_cbranch_execz .LBB5_633
; %bb.628:
	v_mov_b32_e32 v3, 0
	s_mov_b32 s6, exec_lo
	global_load_dwordx2 v[10:11], v3, s[2:3] offset:24 glc dlc
	s_waitcnt vmcnt(0)
	buffer_gl1_inv
	buffer_gl0_inv
	s_clause 0x1
	global_load_dwordx2 v[0:1], v3, s[2:3] offset:40
	global_load_dwordx2 v[8:9], v3, s[2:3]
	s_waitcnt vmcnt(1)
	v_and_b32_e32 v1, v1, v11
	v_and_b32_e32 v0, v0, v10
	v_mul_lo_u32 v1, v1, 24
	v_mul_hi_u32 v4, v0, 24
	v_mul_lo_u32 v0, v0, 24
	v_add_nc_u32_e32 v1, v4, v1
	s_waitcnt vmcnt(0)
	v_add_co_u32 v0, vcc_lo, v8, v0
	v_add_co_ci_u32_e64 v1, null, v9, v1, vcc_lo
	global_load_dwordx2 v[8:9], v[0:1], off glc dlc
	s_waitcnt vmcnt(0)
	global_atomic_cmpswap_x2 v[0:1], v3, v[8:11], s[2:3] offset:24 glc
	s_waitcnt vmcnt(0)
	buffer_gl1_inv
	buffer_gl0_inv
	v_cmpx_ne_u64_e64 v[0:1], v[10:11]
	s_cbranch_execz .LBB5_632
; %bb.629:
	s_mov_b32 s7, 0
	.p2align	6
.LBB5_630:                              ; =>This Inner Loop Header: Depth=1
	s_sleep 1
	s_clause 0x1
	global_load_dwordx2 v[8:9], v3, s[2:3] offset:40
	global_load_dwordx2 v[12:13], v3, s[2:3]
	v_mov_b32_e32 v11, v1
	v_mov_b32_e32 v10, v0
	s_waitcnt vmcnt(1)
	v_and_b32_e32 v0, v8, v10
	v_and_b32_e32 v4, v9, v11
	s_waitcnt vmcnt(0)
	v_mad_u64_u32 v[0:1], null, v0, 24, v[12:13]
	v_mad_u64_u32 v[8:9], null, v4, 24, v[1:2]
	v_mov_b32_e32 v1, v8
	global_load_dwordx2 v[8:9], v[0:1], off glc dlc
	s_waitcnt vmcnt(0)
	global_atomic_cmpswap_x2 v[0:1], v3, v[8:11], s[2:3] offset:24 glc
	s_waitcnt vmcnt(0)
	buffer_gl1_inv
	buffer_gl0_inv
	v_cmp_eq_u64_e32 vcc_lo, v[0:1], v[10:11]
	s_or_b32 s7, vcc_lo, s7
	s_andn2_b32 exec_lo, exec_lo, s7
	s_cbranch_execnz .LBB5_630
; %bb.631:
	s_or_b32 exec_lo, exec_lo, s7
.LBB5_632:
	s_or_b32 exec_lo, exec_lo, s6
.LBB5_633:
	s_or_b32 exec_lo, exec_lo, s1
	v_mov_b32_e32 v9, 0
	v_readfirstlane_b32 s7, v1
	v_readfirstlane_b32 s6, v0
	s_mov_b32 s1, exec_lo
	s_clause 0x1
	global_load_dwordx2 v[3:4], v9, s[2:3] offset:40
	global_load_dwordx4 v[10:13], v9, s[2:3]
	s_waitcnt vmcnt(1)
	v_readfirstlane_b32 s8, v3
	v_readfirstlane_b32 s9, v4
	s_and_b64 s[8:9], s[8:9], s[6:7]
	s_mul_i32 s10, s9, 24
	s_mul_hi_u32 s11, s8, 24
	s_mul_i32 s12, s8, 24
	s_add_i32 s11, s11, s10
	s_waitcnt vmcnt(0)
	v_add_co_u32 v0, vcc_lo, v10, s12
	v_add_co_ci_u32_e64 v1, null, s11, v11, vcc_lo
	s_and_saveexec_b32 s10, s0
	s_cbranch_execz .LBB5_635
; %bb.634:
	v_mov_b32_e32 v8, s1
	v_mov_b32_e32 v15, v9
	;; [unrolled: 1-line block ×5, first 2 shown]
	global_store_dwordx4 v[0:1], v[14:17], off offset:8
.LBB5_635:
	s_or_b32 exec_lo, exec_lo, s10
	s_lshl_b64 s[8:9], s[8:9], 12
	s_add_i32 s20, s20, 15
	v_add_co_u32 v3, vcc_lo, v12, s8
	v_add_co_ci_u32_e64 v4, null, s9, v13, vcc_lo
	s_mov_b32 s8, 0
	s_lshr_b32 s1, s20, 4
	s_mov_b32 s11, s8
	s_mov_b32 s9, s8
	;; [unrolled: 1-line block ×3, first 2 shown]
	v_and_or_b32 v6, 0xffffff1d, v6, 34
	v_mov_b32_e32 v8, s1
	v_readfirstlane_b32 s12, v3
	v_readfirstlane_b32 s13, v4
	v_mov_b32_e32 v15, s11
	v_mov_b32_e32 v14, s10
	;; [unrolled: 1-line block ×4, first 2 shown]
	global_store_dwordx4 v30, v[6:9], s[12:13]
	global_store_dwordx4 v30, v[12:15], s[12:13] offset:16
	global_store_dwordx4 v30, v[12:15], s[12:13] offset:32
	;; [unrolled: 1-line block ×3, first 2 shown]
	s_and_saveexec_b32 s1, s0
	s_cbranch_execz .LBB5_643
; %bb.636:
	v_mov_b32_e32 v12, 0
	v_mov_b32_e32 v13, s6
	;; [unrolled: 1-line block ×3, first 2 shown]
	s_clause 0x1
	global_load_dwordx2 v[15:16], v12, s[2:3] offset:32 glc dlc
	global_load_dwordx2 v[3:4], v12, s[2:3] offset:40
	s_waitcnt vmcnt(0)
	v_readfirstlane_b32 s8, v3
	v_readfirstlane_b32 s9, v4
	s_and_b64 s[8:9], s[8:9], s[6:7]
	s_mul_i32 s9, s9, 24
	s_mul_hi_u32 s10, s8, 24
	s_mul_i32 s8, s8, 24
	s_add_i32 s10, s10, s9
	v_add_co_u32 v3, vcc_lo, v10, s8
	v_add_co_ci_u32_e64 v4, null, s10, v11, vcc_lo
	s_mov_b32 s8, exec_lo
	global_store_dwordx2 v[3:4], v[15:16], off
	s_waitcnt_vscnt null, 0x0
	global_atomic_cmpswap_x2 v[8:9], v12, v[13:16], s[2:3] offset:32 glc
	s_waitcnt vmcnt(0)
	v_cmpx_ne_u64_e64 v[8:9], v[15:16]
	s_cbranch_execz .LBB5_639
; %bb.637:
	s_mov_b32 s9, 0
.LBB5_638:                              ; =>This Inner Loop Header: Depth=1
	v_mov_b32_e32 v6, s6
	v_mov_b32_e32 v7, s7
	s_sleep 1
	global_store_dwordx2 v[3:4], v[8:9], off
	s_waitcnt_vscnt null, 0x0
	global_atomic_cmpswap_x2 v[6:7], v12, v[6:9], s[2:3] offset:32 glc
	s_waitcnt vmcnt(0)
	v_cmp_eq_u64_e32 vcc_lo, v[6:7], v[8:9]
	v_mov_b32_e32 v9, v7
	v_mov_b32_e32 v8, v6
	s_or_b32 s9, vcc_lo, s9
	s_andn2_b32 exec_lo, exec_lo, s9
	s_cbranch_execnz .LBB5_638
.LBB5_639:
	s_or_b32 exec_lo, exec_lo, s8
	v_mov_b32_e32 v7, 0
	s_mov_b32 s9, exec_lo
	s_mov_b32 s8, exec_lo
	v_mbcnt_lo_u32_b32 v6, s9, 0
	global_load_dwordx2 v[3:4], v7, s[2:3] offset:16
	v_cmpx_eq_u32_e32 0, v6
	s_cbranch_execz .LBB5_641
; %bb.640:
	s_bcnt1_i32_b32 s9, s9
	v_mov_b32_e32 v6, s9
	s_waitcnt vmcnt(0)
	global_atomic_add_x2 v[3:4], v[6:7], off offset:8
.LBB5_641:
	s_or_b32 exec_lo, exec_lo, s8
	s_waitcnt vmcnt(0)
	global_load_dwordx2 v[6:7], v[3:4], off offset:16
	s_waitcnt vmcnt(0)
	v_cmp_eq_u64_e32 vcc_lo, 0, v[6:7]
	s_cbranch_vccnz .LBB5_643
; %bb.642:
	global_load_dword v3, v[3:4], off offset:24
	v_mov_b32_e32 v4, 0
	s_waitcnt vmcnt(0)
	v_readfirstlane_b32 s8, v3
	s_waitcnt_vscnt null, 0x0
	global_store_dwordx2 v[6:7], v[3:4], off
	s_and_b32 m0, s8, 0x7fffff
	s_sendmsg sendmsg(MSG_INTERRUPT)
.LBB5_643:
	s_or_b32 exec_lo, exec_lo, s1
	s_branch .LBB5_647
	.p2align	6
.LBB5_644:                              ;   in Loop: Header=BB5_647 Depth=1
	s_or_b32 exec_lo, exec_lo, s1
	v_readfirstlane_b32 s1, v3
	s_cmp_eq_u32 s1, 0
	s_cbranch_scc1 .LBB5_646
; %bb.645:                              ;   in Loop: Header=BB5_647 Depth=1
	s_sleep 1
	s_cbranch_execnz .LBB5_647
	s_branch .LBB5_649
	.p2align	6
.LBB5_646:
	s_branch .LBB5_649
.LBB5_647:                              ; =>This Inner Loop Header: Depth=1
	v_mov_b32_e32 v3, 1
	s_and_saveexec_b32 s1, s0
	s_cbranch_execz .LBB5_644
; %bb.648:                              ;   in Loop: Header=BB5_647 Depth=1
	global_load_dword v3, v[0:1], off offset:20 glc dlc
	s_waitcnt vmcnt(0)
	buffer_gl1_inv
	buffer_gl0_inv
	v_and_b32_e32 v3, 1, v3
	s_branch .LBB5_644
.LBB5_649:
	s_and_saveexec_b32 s8, s0
	s_cbranch_execz .LBB5_653
; %bb.650:
	v_mov_b32_e32 v3, 0
	s_clause 0x2
	global_load_dwordx2 v[0:1], v3, s[2:3] offset:40
	global_load_dwordx2 v[10:11], v3, s[2:3] offset:24 glc dlc
	global_load_dwordx2 v[6:7], v3, s[2:3]
	s_waitcnt vmcnt(2)
	v_readfirstlane_b32 s10, v0
	v_readfirstlane_b32 s11, v1
	s_add_u32 s9, s10, 1
	s_addc_u32 s12, s11, 0
	s_add_u32 s0, s9, s6
	s_addc_u32 s1, s12, s7
	s_cmp_eq_u64 s[0:1], 0
	s_cselect_b32 s1, s12, s1
	s_cselect_b32 s0, s9, s0
	v_mov_b32_e32 v9, s1
	s_and_b64 s[6:7], s[0:1], s[10:11]
	v_mov_b32_e32 v8, s0
	s_mul_i32 s7, s7, 24
	s_mul_hi_u32 s9, s6, 24
	s_mul_i32 s6, s6, 24
	s_add_i32 s9, s9, s7
	s_waitcnt vmcnt(0)
	v_add_co_u32 v0, vcc_lo, v6, s6
	v_add_co_ci_u32_e64 v1, null, s9, v7, vcc_lo
	global_store_dwordx2 v[0:1], v[10:11], off
	s_waitcnt_vscnt null, 0x0
	global_atomic_cmpswap_x2 v[8:9], v3, v[8:11], s[2:3] offset:24 glc
	s_waitcnt vmcnt(0)
	v_cmp_ne_u64_e32 vcc_lo, v[8:9], v[10:11]
	s_and_b32 exec_lo, exec_lo, vcc_lo
	s_cbranch_execz .LBB5_653
; %bb.651:
	s_mov_b32 s6, 0
.LBB5_652:                              ; =>This Inner Loop Header: Depth=1
	v_mov_b32_e32 v6, s0
	v_mov_b32_e32 v7, s1
	s_sleep 1
	global_store_dwordx2 v[0:1], v[8:9], off
	s_waitcnt_vscnt null, 0x0
	global_atomic_cmpswap_x2 v[6:7], v3, v[6:9], s[2:3] offset:24 glc
	s_waitcnt vmcnt(0)
	v_cmp_eq_u64_e32 vcc_lo, v[6:7], v[8:9]
	v_mov_b32_e32 v9, v7
	v_mov_b32_e32 v8, v6
	s_or_b32 s6, vcc_lo, s6
	s_andn2_b32 exec_lo, exec_lo, s6
	s_cbranch_execnz .LBB5_652
.LBB5_653:
	s_or_b32 exec_lo, exec_lo, s8
	s_load_dwordx2 s[0:1], s[4:5], 0x0
	v_lshlrev_b32_e32 v0, 2, v5
	s_waitcnt lgkmcnt(0)
	global_store_dword v0, v2, s[0:1]
	s_endpgm
	.section	.rodata,"a",@progbits
	.p2align	6, 0x0
	.amdhsa_kernel _Z32kernel_cg_group_partition_staticILj16EEvPibS0_
		.amdhsa_group_segment_fixed_size 0
		.amdhsa_private_segment_fixed_size 0
		.amdhsa_kernarg_size 280
		.amdhsa_user_sgpr_count 6
		.amdhsa_user_sgpr_private_segment_buffer 1
		.amdhsa_user_sgpr_dispatch_ptr 0
		.amdhsa_user_sgpr_queue_ptr 0
		.amdhsa_user_sgpr_kernarg_segment_ptr 1
		.amdhsa_user_sgpr_dispatch_id 0
		.amdhsa_user_sgpr_flat_scratch_init 0
		.amdhsa_user_sgpr_private_segment_size 0
		.amdhsa_wavefront_size32 1
		.amdhsa_uses_dynamic_stack 0
		.amdhsa_system_sgpr_private_segment_wavefront_offset 0
		.amdhsa_system_sgpr_workgroup_id_x 1
		.amdhsa_system_sgpr_workgroup_id_y 0
		.amdhsa_system_sgpr_workgroup_id_z 0
		.amdhsa_system_sgpr_workgroup_info 0
		.amdhsa_system_vgpr_workitem_id 2
		.amdhsa_next_free_vgpr 36
		.amdhsa_next_free_sgpr 28
		.amdhsa_reserve_vcc 1
		.amdhsa_reserve_flat_scratch 0
		.amdhsa_float_round_mode_32 0
		.amdhsa_float_round_mode_16_64 0
		.amdhsa_float_denorm_mode_32 3
		.amdhsa_float_denorm_mode_16_64 3
		.amdhsa_dx10_clamp 1
		.amdhsa_ieee_mode 1
		.amdhsa_fp16_overflow 0
		.amdhsa_workgroup_processor_mode 1
		.amdhsa_memory_ordered 1
		.amdhsa_forward_progress 1
		.amdhsa_shared_vgpr_count 0
		.amdhsa_exception_fp_ieee_invalid_op 0
		.amdhsa_exception_fp_denorm_src 0
		.amdhsa_exception_fp_ieee_div_zero 0
		.amdhsa_exception_fp_ieee_overflow 0
		.amdhsa_exception_fp_ieee_underflow 0
		.amdhsa_exception_fp_ieee_inexact 0
		.amdhsa_exception_int_div_zero 0
	.end_amdhsa_kernel
	.section	.text._Z32kernel_cg_group_partition_staticILj16EEvPibS0_,"axG",@progbits,_Z32kernel_cg_group_partition_staticILj16EEvPibS0_,comdat
.Lfunc_end5:
	.size	_Z32kernel_cg_group_partition_staticILj16EEvPibS0_, .Lfunc_end5-_Z32kernel_cg_group_partition_staticILj16EEvPibS0_
                                        ; -- End function
	.set _Z32kernel_cg_group_partition_staticILj16EEvPibS0_.num_vgpr, 36
	.set _Z32kernel_cg_group_partition_staticILj16EEvPibS0_.num_agpr, 0
	.set _Z32kernel_cg_group_partition_staticILj16EEvPibS0_.numbered_sgpr, 28
	.set _Z32kernel_cg_group_partition_staticILj16EEvPibS0_.num_named_barrier, 0
	.set _Z32kernel_cg_group_partition_staticILj16EEvPibS0_.private_seg_size, 0
	.set _Z32kernel_cg_group_partition_staticILj16EEvPibS0_.uses_vcc, 1
	.set _Z32kernel_cg_group_partition_staticILj16EEvPibS0_.uses_flat_scratch, 0
	.set _Z32kernel_cg_group_partition_staticILj16EEvPibS0_.has_dyn_sized_stack, 0
	.set _Z32kernel_cg_group_partition_staticILj16EEvPibS0_.has_recursion, 0
	.set _Z32kernel_cg_group_partition_staticILj16EEvPibS0_.has_indirect_call, 0
	.section	.AMDGPU.csdata,"",@progbits
; Kernel info:
; codeLenInByte = 28216
; TotalNumSgprs: 30
; NumVgprs: 36
; ScratchSize: 0
; MemoryBound: 0
; FloatMode: 240
; IeeeMode: 1
; LDSByteSize: 0 bytes/workgroup (compile time only)
; SGPRBlocks: 0
; VGPRBlocks: 4
; NumSGPRsForWavesPerEU: 30
; NumVGPRsForWavesPerEU: 36
; Occupancy: 16
; WaveLimiterHint : 1
; COMPUTE_PGM_RSRC2:SCRATCH_EN: 0
; COMPUTE_PGM_RSRC2:USER_SGPR: 6
; COMPUTE_PGM_RSRC2:TRAP_HANDLER: 0
; COMPUTE_PGM_RSRC2:TGID_X_EN: 1
; COMPUTE_PGM_RSRC2:TGID_Y_EN: 0
; COMPUTE_PGM_RSRC2:TGID_Z_EN: 0
; COMPUTE_PGM_RSRC2:TIDIG_COMP_CNT: 2
	.section	.text._Z32kernel_cg_group_partition_staticILj32EEvPibS0_,"axG",@progbits,_Z32kernel_cg_group_partition_staticILj32EEvPibS0_,comdat
	.protected	_Z32kernel_cg_group_partition_staticILj32EEvPibS0_ ; -- Begin function _Z32kernel_cg_group_partition_staticILj32EEvPibS0_
	.globl	_Z32kernel_cg_group_partition_staticILj32EEvPibS0_
	.p2align	8
	.type	_Z32kernel_cg_group_partition_staticILj32EEvPibS0_,@function
_Z32kernel_cg_group_partition_staticILj32EEvPibS0_: ; @_Z32kernel_cg_group_partition_staticILj32EEvPibS0_
; %bb.0:
	s_mov_b64 s[0:1], src_shared_base
	s_clause 0x2
	s_load_dword s0, s[4:5], 0x8
	s_load_dwordx2 s[6:7], s[4:5], 0x24
	s_load_dwordx2 s[8:9], s[4:5], 0x10
	s_waitcnt lgkmcnt(0)
	s_and_b32 s0, 1, s0
	s_add_u32 s2, s4, 24
	s_addc_u32 s3, s5, 0
	s_lshr_b32 s10, s6, 16
	s_and_b32 s6, s6, 0xffff
	v_mad_u32_u24 v1, v2, s10, v1
	s_and_b32 s7, s7, 0xffff
	s_cmp_lg_u32 0, -1
	s_mul_i32 s20, s10, s6
	s_cselect_b32 s11, 0, 0
	v_mad_u64_u32 v[26:27], null, v1, s6, v[0:1]
	s_cselect_b32 s1, s1, 0
	s_cmp_eq_u32 s0, 1
	s_mul_i32 s20, s20, s7
	s_cselect_b32 s21, s9, s1
	s_cselect_b32 s22, s8, s11
	s_cmp_lt_u32 s20, 2
	v_mov_b32_e32 v29, v26
	v_mov_b32_e32 v32, v26
	s_mov_b32 s1, 0
	s_cbranch_scc1 .LBB6_6
; %bb.1:
	v_ashrrev_i32_e32 v27, 31, v26
	v_mov_b32_e32 v32, v29
	s_mov_b32 s6, s20
	v_lshlrev_b64 v[0:1], 2, v[26:27]
	v_add_co_u32 v0, vcc_lo, s22, v0
	v_add_co_ci_u32_e64 v1, null, s21, v1, vcc_lo
	.p2align	6
.LBB6_2:                                ; =>This Inner Loop Header: Depth=1
	s_lshr_b32 s0, s6, 1
	s_mov_b32 s7, exec_lo
	flat_store_dword v[0:1], v32
	s_waitcnt lgkmcnt(0)
	s_waitcnt_vscnt null, 0x0
	s_barrier
	buffer_gl0_inv
	v_cmpx_gt_i32_e64 s0, v26
	s_cbranch_execz .LBB6_4
; %bb.3:                                ;   in Loop: Header=BB6_2 Depth=1
	s_lshl_b64 s[8:9], s[0:1], 2
	v_add_co_u32 v2, vcc_lo, v0, s8
	v_add_co_ci_u32_e64 v3, null, s9, v1, vcc_lo
	flat_load_dword v2, v[2:3]
	s_waitcnt vmcnt(0) lgkmcnt(0)
	v_add_nc_u32_e32 v32, v2, v32
.LBB6_4:                                ;   in Loop: Header=BB6_2 Depth=1
	s_or_b32 exec_lo, exec_lo, s7
	s_cmp_gt_u32 s6, 3
	s_barrier
	buffer_gl0_inv
	s_cbranch_scc0 .LBB6_6
; %bb.5:                                ;   in Loop: Header=BB6_2 Depth=1
	s_mov_b32 s6, s0
	s_branch .LBB6_2
.LBB6_6:
	v_cmp_eq_u32_e64 s0, 0, v26
	s_and_saveexec_b32 s23, s0
	s_cbranch_execz .LBB6_402
; %bb.7:
	s_load_dwordx2 s[6:7], s[2:3], 0x50
	v_mbcnt_lo_u32_b32 v31, -1, 0
	v_mov_b32_e32 v6, 0
	v_mov_b32_e32 v7, 0
	v_readfirstlane_b32 s1, v31
	v_cmp_eq_u32_e64 s1, s1, v31
	s_and_saveexec_b32 s8, s1
	s_cbranch_execz .LBB6_13
; %bb.8:
	v_mov_b32_e32 v0, 0
	s_mov_b32 s9, exec_lo
	s_waitcnt lgkmcnt(0)
	global_load_dwordx2 v[3:4], v0, s[6:7] offset:24 glc dlc
	s_waitcnt vmcnt(0)
	buffer_gl1_inv
	buffer_gl0_inv
	s_clause 0x1
	global_load_dwordx2 v[1:2], v0, s[6:7] offset:40
	global_load_dwordx2 v[5:6], v0, s[6:7]
	s_waitcnt vmcnt(1)
	v_and_b32_e32 v2, v2, v4
	v_and_b32_e32 v1, v1, v3
	v_mul_lo_u32 v2, v2, 24
	v_mul_hi_u32 v7, v1, 24
	v_mul_lo_u32 v1, v1, 24
	v_add_nc_u32_e32 v2, v7, v2
	s_waitcnt vmcnt(0)
	v_add_co_u32 v1, vcc_lo, v5, v1
	v_add_co_ci_u32_e64 v2, null, v6, v2, vcc_lo
	global_load_dwordx2 v[1:2], v[1:2], off glc dlc
	s_waitcnt vmcnt(0)
	global_atomic_cmpswap_x2 v[6:7], v0, v[1:4], s[6:7] offset:24 glc
	s_waitcnt vmcnt(0)
	buffer_gl1_inv
	buffer_gl0_inv
	v_cmpx_ne_u64_e64 v[6:7], v[3:4]
	s_cbranch_execz .LBB6_12
; %bb.9:
	s_mov_b32 s10, 0
	.p2align	6
.LBB6_10:                               ; =>This Inner Loop Header: Depth=1
	s_sleep 1
	s_clause 0x1
	global_load_dwordx2 v[1:2], v0, s[6:7] offset:40
	global_load_dwordx2 v[8:9], v0, s[6:7]
	v_mov_b32_e32 v3, v6
	v_mov_b32_e32 v4, v7
	s_waitcnt vmcnt(1)
	v_and_b32_e32 v1, v1, v3
	v_and_b32_e32 v2, v2, v4
	s_waitcnt vmcnt(0)
	v_mad_u64_u32 v[5:6], null, v1, 24, v[8:9]
	v_mov_b32_e32 v1, v6
	v_mad_u64_u32 v[1:2], null, v2, 24, v[1:2]
	v_mov_b32_e32 v6, v1
	global_load_dwordx2 v[1:2], v[5:6], off glc dlc
	s_waitcnt vmcnt(0)
	global_atomic_cmpswap_x2 v[6:7], v0, v[1:4], s[6:7] offset:24 glc
	s_waitcnt vmcnt(0)
	buffer_gl1_inv
	buffer_gl0_inv
	v_cmp_eq_u64_e32 vcc_lo, v[6:7], v[3:4]
	s_or_b32 s10, vcc_lo, s10
	s_andn2_b32 exec_lo, exec_lo, s10
	s_cbranch_execnz .LBB6_10
; %bb.11:
	s_or_b32 exec_lo, exec_lo, s10
.LBB6_12:
	s_or_b32 exec_lo, exec_lo, s9
.LBB6_13:
	s_or_b32 exec_lo, exec_lo, s8
	v_mov_b32_e32 v5, 0
	v_readfirstlane_b32 s9, v7
	v_readfirstlane_b32 s8, v6
	s_mov_b32 s12, exec_lo
	s_waitcnt lgkmcnt(0)
	s_clause 0x1
	global_load_dwordx2 v[8:9], v5, s[6:7] offset:40
	global_load_dwordx4 v[0:3], v5, s[6:7]
	s_waitcnt vmcnt(1)
	v_readfirstlane_b32 s10, v8
	v_readfirstlane_b32 s11, v9
	s_and_b64 s[10:11], s[10:11], s[8:9]
	s_mul_i32 s13, s11, 24
	s_mul_hi_u32 s14, s10, 24
	s_mul_i32 s15, s10, 24
	s_add_i32 s14, s14, s13
	s_waitcnt vmcnt(0)
	v_add_co_u32 v8, vcc_lo, v0, s15
	v_add_co_ci_u32_e64 v9, null, s14, v1, vcc_lo
	s_and_saveexec_b32 s13, s1
	s_cbranch_execz .LBB6_15
; %bb.14:
	v_mov_b32_e32 v4, s12
	v_mov_b32_e32 v6, 2
	;; [unrolled: 1-line block ×3, first 2 shown]
	global_store_dwordx4 v[8:9], v[4:7], off offset:8
.LBB6_15:
	s_or_b32 exec_lo, exec_lo, s13
	s_lshl_b64 s[10:11], s[10:11], 12
	v_lshlrev_b32_e32 v30, 6, v31
	v_add_co_u32 v2, vcc_lo, v2, s10
	v_add_co_ci_u32_e64 v3, null, s11, v3, vcc_lo
	s_mov_b32 s12, 0
	v_add_co_u32 v10, vcc_lo, v2, v30
	s_mov_b32 s13, s12
	s_mov_b32 s14, s12
	;; [unrolled: 1-line block ×3, first 2 shown]
	v_mov_b32_e32 v4, 33
	v_mov_b32_e32 v6, v5
	;; [unrolled: 1-line block ×3, first 2 shown]
	v_readfirstlane_b32 s10, v2
	v_readfirstlane_b32 s11, v3
	v_mov_b32_e32 v12, s12
	v_add_co_ci_u32_e64 v11, null, 0, v3, vcc_lo
	v_mov_b32_e32 v13, s13
	v_mov_b32_e32 v14, s14
	;; [unrolled: 1-line block ×3, first 2 shown]
	global_store_dwordx4 v30, v[4:7], s[10:11]
	global_store_dwordx4 v30, v[12:15], s[10:11] offset:16
	global_store_dwordx4 v30, v[12:15], s[10:11] offset:32
	;; [unrolled: 1-line block ×3, first 2 shown]
	s_and_saveexec_b32 s10, s1
	s_cbranch_execz .LBB6_22
; %bb.16:
	v_mov_b32_e32 v6, 0
	v_mov_b32_e32 v12, s8
	;; [unrolled: 1-line block ×3, first 2 shown]
	s_mov_b32 s11, exec_lo
	s_clause 0x1
	global_load_dwordx2 v[14:15], v6, s[6:7] offset:32 glc dlc
	global_load_dwordx2 v[2:3], v6, s[6:7] offset:40
	s_waitcnt vmcnt(0)
	v_and_b32_e32 v3, s9, v3
	v_and_b32_e32 v2, s8, v2
	v_mul_lo_u32 v3, v3, 24
	v_mul_hi_u32 v4, v2, 24
	v_mul_lo_u32 v2, v2, 24
	v_add_nc_u32_e32 v3, v4, v3
	v_add_co_u32 v4, vcc_lo, v0, v2
	v_add_co_ci_u32_e64 v5, null, v1, v3, vcc_lo
	global_store_dwordx2 v[4:5], v[14:15], off
	s_waitcnt_vscnt null, 0x0
	global_atomic_cmpswap_x2 v[2:3], v6, v[12:15], s[6:7] offset:32 glc
	s_waitcnt vmcnt(0)
	v_cmpx_ne_u64_e64 v[2:3], v[14:15]
	s_cbranch_execz .LBB6_18
.LBB6_17:                               ; =>This Inner Loop Header: Depth=1
	v_mov_b32_e32 v0, s8
	v_mov_b32_e32 v1, s9
	s_sleep 1
	global_store_dwordx2 v[4:5], v[2:3], off
	s_waitcnt_vscnt null, 0x0
	global_atomic_cmpswap_x2 v[0:1], v6, v[0:3], s[6:7] offset:32 glc
	s_waitcnt vmcnt(0)
	v_cmp_eq_u64_e32 vcc_lo, v[0:1], v[2:3]
	v_mov_b32_e32 v3, v1
	v_mov_b32_e32 v2, v0
	s_or_b32 s12, vcc_lo, s12
	s_andn2_b32 exec_lo, exec_lo, s12
	s_cbranch_execnz .LBB6_17
.LBB6_18:
	s_or_b32 exec_lo, exec_lo, s11
	v_mov_b32_e32 v3, 0
	s_mov_b32 s12, exec_lo
	s_mov_b32 s11, exec_lo
	v_mbcnt_lo_u32_b32 v2, s12, 0
	global_load_dwordx2 v[0:1], v3, s[6:7] offset:16
	v_cmpx_eq_u32_e32 0, v2
	s_cbranch_execz .LBB6_20
; %bb.19:
	s_bcnt1_i32_b32 s12, s12
	v_mov_b32_e32 v2, s12
	s_waitcnt vmcnt(0)
	global_atomic_add_x2 v[0:1], v[2:3], off offset:8
.LBB6_20:
	s_or_b32 exec_lo, exec_lo, s11
	s_waitcnt vmcnt(0)
	global_load_dwordx2 v[2:3], v[0:1], off offset:16
	s_waitcnt vmcnt(0)
	v_cmp_eq_u64_e32 vcc_lo, 0, v[2:3]
	s_cbranch_vccnz .LBB6_22
; %bb.21:
	global_load_dword v0, v[0:1], off offset:24
	v_mov_b32_e32 v1, 0
	s_waitcnt vmcnt(0)
	v_readfirstlane_b32 s11, v0
	s_waitcnt_vscnt null, 0x0
	global_store_dwordx2 v[2:3], v[0:1], off
	s_and_b32 m0, s11, 0x7fffff
	s_sendmsg sendmsg(MSG_INTERRUPT)
.LBB6_22:
	s_or_b32 exec_lo, exec_lo, s10
	s_branch .LBB6_26
	.p2align	6
.LBB6_23:                               ;   in Loop: Header=BB6_26 Depth=1
	s_or_b32 exec_lo, exec_lo, s10
	v_readfirstlane_b32 s10, v0
	s_cmp_eq_u32 s10, 0
	s_cbranch_scc1 .LBB6_25
; %bb.24:                               ;   in Loop: Header=BB6_26 Depth=1
	s_sleep 1
	s_cbranch_execnz .LBB6_26
	s_branch .LBB6_28
	.p2align	6
.LBB6_25:
	s_branch .LBB6_28
.LBB6_26:                               ; =>This Inner Loop Header: Depth=1
	v_mov_b32_e32 v0, 1
	s_and_saveexec_b32 s10, s1
	s_cbranch_execz .LBB6_23
; %bb.27:                               ;   in Loop: Header=BB6_26 Depth=1
	global_load_dword v0, v[8:9], off offset:20 glc dlc
	s_waitcnt vmcnt(0)
	buffer_gl1_inv
	buffer_gl0_inv
	v_and_b32_e32 v0, 1, v0
	s_branch .LBB6_23
.LBB6_28:
	global_load_dwordx2 v[0:1], v[10:11], off
	s_and_saveexec_b32 s10, s1
	s_cbranch_execz .LBB6_32
; %bb.29:
	v_mov_b32_e32 v8, 0
	s_clause 0x2
	global_load_dwordx2 v[2:3], v8, s[6:7] offset:40
	global_load_dwordx2 v[11:12], v8, s[6:7] offset:24 glc dlc
	global_load_dwordx2 v[4:5], v8, s[6:7]
	s_waitcnt vmcnt(2)
	v_readfirstlane_b32 s12, v2
	v_readfirstlane_b32 s13, v3
	s_add_u32 s1, s12, 1
	s_addc_u32 s11, s13, 0
	s_add_u32 s8, s1, s8
	s_addc_u32 s9, s11, s9
	s_cmp_eq_u64 s[8:9], 0
	s_cselect_b32 s9, s11, s9
	s_cselect_b32 s8, s1, s8
	v_mov_b32_e32 v10, s9
	s_and_b64 s[12:13], s[8:9], s[12:13]
	v_mov_b32_e32 v9, s8
	s_mul_i32 s1, s13, 24
	s_mul_hi_u32 s11, s12, 24
	s_mul_i32 s12, s12, 24
	s_add_i32 s11, s11, s1
	s_waitcnt vmcnt(0)
	v_add_co_u32 v6, vcc_lo, v4, s12
	v_add_co_ci_u32_e64 v7, null, s11, v5, vcc_lo
	global_store_dwordx2 v[6:7], v[11:12], off
	s_waitcnt_vscnt null, 0x0
	global_atomic_cmpswap_x2 v[4:5], v8, v[9:12], s[6:7] offset:24 glc
	s_waitcnt vmcnt(0)
	v_cmp_ne_u64_e32 vcc_lo, v[4:5], v[11:12]
	s_and_b32 exec_lo, exec_lo, vcc_lo
	s_cbranch_execz .LBB6_32
; %bb.30:
	s_mov_b32 s1, 0
.LBB6_31:                               ; =>This Inner Loop Header: Depth=1
	v_mov_b32_e32 v2, s8
	v_mov_b32_e32 v3, s9
	s_sleep 1
	global_store_dwordx2 v[6:7], v[4:5], off
	s_waitcnt_vscnt null, 0x0
	global_atomic_cmpswap_x2 v[2:3], v8, v[2:5], s[6:7] offset:24 glc
	s_waitcnt vmcnt(0)
	v_cmp_eq_u64_e32 vcc_lo, v[2:3], v[4:5]
	v_mov_b32_e32 v5, v3
	v_mov_b32_e32 v4, v2
	s_or_b32 s1, vcc_lo, s1
	s_andn2_b32 exec_lo, exec_lo, s1
	s_cbranch_execnz .LBB6_31
.LBB6_32:
	s_or_b32 exec_lo, exec_lo, s10
	s_getpc_b64 s[8:9]
	s_add_u32 s8, s8, .str.8@rel32@lo+4
	s_addc_u32 s9, s9, .str.8@rel32@hi+12
	s_cmp_lg_u64 s[8:9], 0
	s_cbranch_scc0 .LBB6_111
; %bb.33:
	s_waitcnt vmcnt(0)
	v_and_b32_e32 v33, 2, v0
	v_mov_b32_e32 v7, 0
	v_and_b32_e32 v2, -3, v0
	v_mov_b32_e32 v3, v1
	v_mov_b32_e32 v8, 2
	v_mov_b32_e32 v9, 1
	s_mov_b64 s[10:11], 0x4d
	s_branch .LBB6_35
.LBB6_34:                               ;   in Loop: Header=BB6_35 Depth=1
	s_or_b32 exec_lo, exec_lo, s16
	s_sub_u32 s10, s10, s12
	s_subb_u32 s11, s11, s13
	s_add_u32 s8, s8, s12
	s_addc_u32 s9, s9, s13
	s_cmp_lg_u64 s[10:11], 0
	s_cbranch_scc0 .LBB6_110
.LBB6_35:                               ; =>This Loop Header: Depth=1
                                        ;     Child Loop BB6_38 Depth 2
                                        ;     Child Loop BB6_45 Depth 2
	;; [unrolled: 1-line block ×11, first 2 shown]
	v_cmp_lt_u64_e64 s1, s[10:11], 56
	v_cmp_gt_u64_e64 s16, s[10:11], 7
	s_and_b32 s1, s1, exec_lo
	s_cselect_b32 s13, s11, 0
	s_cselect_b32 s12, s10, 56
	s_add_u32 s14, s8, 8
	s_addc_u32 s15, s9, 0
	s_and_b32 vcc_lo, exec_lo, s16
	s_cbranch_vccnz .LBB6_40
; %bb.36:                               ;   in Loop: Header=BB6_35 Depth=1
	v_mov_b32_e32 v4, 0
	v_mov_b32_e32 v5, 0
	s_cmp_eq_u64 s[10:11], 0
	s_cbranch_scc1 .LBB6_39
; %bb.37:                               ;   in Loop: Header=BB6_35 Depth=1
	s_lshl_b64 s[14:15], s[12:13], 3
	s_mov_b64 s[16:17], 0
	s_mov_b64 s[18:19], s[8:9]
.LBB6_38:                               ;   Parent Loop BB6_35 Depth=1
                                        ; =>  This Inner Loop Header: Depth=2
	global_load_ubyte v6, v7, s[18:19]
	s_waitcnt vmcnt(0)
	v_and_b32_e32 v6, 0xffff, v6
	v_lshlrev_b64 v[10:11], s16, v[6:7]
	s_add_u32 s16, s16, 8
	s_addc_u32 s17, s17, 0
	s_add_u32 s18, s18, 1
	s_addc_u32 s19, s19, 0
	s_cmp_lg_u32 s14, s16
	v_or_b32_e32 v4, v10, v4
	v_or_b32_e32 v5, v11, v5
	s_cbranch_scc1 .LBB6_38
.LBB6_39:                               ;   in Loop: Header=BB6_35 Depth=1
	s_mov_b64 s[14:15], s[8:9]
	s_mov_b32 s1, 0
	s_cbranch_execz .LBB6_41
	s_branch .LBB6_42
.LBB6_40:                               ;   in Loop: Header=BB6_35 Depth=1
	s_mov_b32 s1, 0
.LBB6_41:                               ;   in Loop: Header=BB6_35 Depth=1
	global_load_dwordx2 v[4:5], v7, s[8:9]
	s_add_i32 s1, s12, -8
.LBB6_42:                               ;   in Loop: Header=BB6_35 Depth=1
	s_add_u32 s16, s14, 8
	s_addc_u32 s17, s15, 0
	s_cmp_gt_u32 s1, 7
	s_cbranch_scc1 .LBB6_47
; %bb.43:                               ;   in Loop: Header=BB6_35 Depth=1
	v_mov_b32_e32 v10, 0
	v_mov_b32_e32 v11, 0
	s_cmp_eq_u32 s1, 0
	s_cbranch_scc1 .LBB6_46
; %bb.44:                               ;   in Loop: Header=BB6_35 Depth=1
	s_mov_b64 s[16:17], 0
	s_mov_b64 s[18:19], 0
.LBB6_45:                               ;   Parent Loop BB6_35 Depth=1
                                        ; =>  This Inner Loop Header: Depth=2
	s_add_u32 s24, s14, s18
	s_addc_u32 s25, s15, s19
	s_add_u32 s18, s18, 1
	global_load_ubyte v6, v7, s[24:25]
	s_addc_u32 s19, s19, 0
	s_waitcnt vmcnt(0)
	v_and_b32_e32 v6, 0xffff, v6
	v_lshlrev_b64 v[12:13], s16, v[6:7]
	s_add_u32 s16, s16, 8
	s_addc_u32 s17, s17, 0
	s_cmp_lg_u32 s1, s18
	v_or_b32_e32 v10, v12, v10
	v_or_b32_e32 v11, v13, v11
	s_cbranch_scc1 .LBB6_45
.LBB6_46:                               ;   in Loop: Header=BB6_35 Depth=1
	s_mov_b64 s[16:17], s[14:15]
	s_mov_b32 s24, 0
	s_cbranch_execz .LBB6_48
	s_branch .LBB6_49
.LBB6_47:                               ;   in Loop: Header=BB6_35 Depth=1
                                        ; implicit-def: $vgpr10_vgpr11
	s_mov_b32 s24, 0
.LBB6_48:                               ;   in Loop: Header=BB6_35 Depth=1
	global_load_dwordx2 v[10:11], v7, s[14:15]
	s_add_i32 s24, s1, -8
.LBB6_49:                               ;   in Loop: Header=BB6_35 Depth=1
	s_add_u32 s14, s16, 8
	s_addc_u32 s15, s17, 0
	s_cmp_gt_u32 s24, 7
	s_cbranch_scc1 .LBB6_54
; %bb.50:                               ;   in Loop: Header=BB6_35 Depth=1
	v_mov_b32_e32 v12, 0
	v_mov_b32_e32 v13, 0
	s_cmp_eq_u32 s24, 0
	s_cbranch_scc1 .LBB6_53
; %bb.51:                               ;   in Loop: Header=BB6_35 Depth=1
	s_mov_b64 s[14:15], 0
	s_mov_b64 s[18:19], 0
.LBB6_52:                               ;   Parent Loop BB6_35 Depth=1
                                        ; =>  This Inner Loop Header: Depth=2
	s_add_u32 s26, s16, s18
	s_addc_u32 s27, s17, s19
	s_add_u32 s18, s18, 1
	global_load_ubyte v6, v7, s[26:27]
	s_addc_u32 s19, s19, 0
	s_waitcnt vmcnt(0)
	v_and_b32_e32 v6, 0xffff, v6
	v_lshlrev_b64 v[14:15], s14, v[6:7]
	s_add_u32 s14, s14, 8
	s_addc_u32 s15, s15, 0
	s_cmp_lg_u32 s24, s18
	v_or_b32_e32 v12, v14, v12
	v_or_b32_e32 v13, v15, v13
	s_cbranch_scc1 .LBB6_52
.LBB6_53:                               ;   in Loop: Header=BB6_35 Depth=1
	s_mov_b64 s[14:15], s[16:17]
	s_mov_b32 s1, 0
	s_cbranch_execz .LBB6_55
	s_branch .LBB6_56
.LBB6_54:                               ;   in Loop: Header=BB6_35 Depth=1
	s_mov_b32 s1, 0
.LBB6_55:                               ;   in Loop: Header=BB6_35 Depth=1
	global_load_dwordx2 v[12:13], v7, s[16:17]
	s_add_i32 s1, s24, -8
.LBB6_56:                               ;   in Loop: Header=BB6_35 Depth=1
	s_add_u32 s16, s14, 8
	s_addc_u32 s17, s15, 0
	s_cmp_gt_u32 s1, 7
	s_cbranch_scc1 .LBB6_61
; %bb.57:                               ;   in Loop: Header=BB6_35 Depth=1
	v_mov_b32_e32 v14, 0
	v_mov_b32_e32 v15, 0
	s_cmp_eq_u32 s1, 0
	s_cbranch_scc1 .LBB6_60
; %bb.58:                               ;   in Loop: Header=BB6_35 Depth=1
	s_mov_b64 s[16:17], 0
	s_mov_b64 s[18:19], 0
.LBB6_59:                               ;   Parent Loop BB6_35 Depth=1
                                        ; =>  This Inner Loop Header: Depth=2
	s_add_u32 s24, s14, s18
	s_addc_u32 s25, s15, s19
	s_add_u32 s18, s18, 1
	global_load_ubyte v6, v7, s[24:25]
	s_addc_u32 s19, s19, 0
	s_waitcnt vmcnt(0)
	v_and_b32_e32 v6, 0xffff, v6
	v_lshlrev_b64 v[16:17], s16, v[6:7]
	s_add_u32 s16, s16, 8
	s_addc_u32 s17, s17, 0
	s_cmp_lg_u32 s1, s18
	v_or_b32_e32 v14, v16, v14
	v_or_b32_e32 v15, v17, v15
	s_cbranch_scc1 .LBB6_59
.LBB6_60:                               ;   in Loop: Header=BB6_35 Depth=1
	s_mov_b64 s[16:17], s[14:15]
	s_mov_b32 s24, 0
	s_cbranch_execz .LBB6_62
	s_branch .LBB6_63
.LBB6_61:                               ;   in Loop: Header=BB6_35 Depth=1
                                        ; implicit-def: $vgpr14_vgpr15
	s_mov_b32 s24, 0
.LBB6_62:                               ;   in Loop: Header=BB6_35 Depth=1
	global_load_dwordx2 v[14:15], v7, s[14:15]
	s_add_i32 s24, s1, -8
.LBB6_63:                               ;   in Loop: Header=BB6_35 Depth=1
	s_add_u32 s14, s16, 8
	s_addc_u32 s15, s17, 0
	s_cmp_gt_u32 s24, 7
	s_cbranch_scc1 .LBB6_68
; %bb.64:                               ;   in Loop: Header=BB6_35 Depth=1
	v_mov_b32_e32 v16, 0
	v_mov_b32_e32 v17, 0
	s_cmp_eq_u32 s24, 0
	s_cbranch_scc1 .LBB6_67
; %bb.65:                               ;   in Loop: Header=BB6_35 Depth=1
	s_mov_b64 s[14:15], 0
	s_mov_b64 s[18:19], 0
.LBB6_66:                               ;   Parent Loop BB6_35 Depth=1
                                        ; =>  This Inner Loop Header: Depth=2
	s_add_u32 s26, s16, s18
	s_addc_u32 s27, s17, s19
	s_add_u32 s18, s18, 1
	global_load_ubyte v6, v7, s[26:27]
	s_addc_u32 s19, s19, 0
	s_waitcnt vmcnt(0)
	v_and_b32_e32 v6, 0xffff, v6
	v_lshlrev_b64 v[18:19], s14, v[6:7]
	s_add_u32 s14, s14, 8
	s_addc_u32 s15, s15, 0
	s_cmp_lg_u32 s24, s18
	v_or_b32_e32 v16, v18, v16
	v_or_b32_e32 v17, v19, v17
	s_cbranch_scc1 .LBB6_66
.LBB6_67:                               ;   in Loop: Header=BB6_35 Depth=1
	s_mov_b64 s[14:15], s[16:17]
	s_mov_b32 s1, 0
	s_cbranch_execz .LBB6_69
	s_branch .LBB6_70
.LBB6_68:                               ;   in Loop: Header=BB6_35 Depth=1
	s_mov_b32 s1, 0
.LBB6_69:                               ;   in Loop: Header=BB6_35 Depth=1
	global_load_dwordx2 v[16:17], v7, s[16:17]
	s_add_i32 s1, s24, -8
.LBB6_70:                               ;   in Loop: Header=BB6_35 Depth=1
	s_add_u32 s16, s14, 8
	s_addc_u32 s17, s15, 0
	s_cmp_gt_u32 s1, 7
	s_cbranch_scc1 .LBB6_75
; %bb.71:                               ;   in Loop: Header=BB6_35 Depth=1
	v_mov_b32_e32 v18, 0
	v_mov_b32_e32 v19, 0
	s_cmp_eq_u32 s1, 0
	s_cbranch_scc1 .LBB6_74
; %bb.72:                               ;   in Loop: Header=BB6_35 Depth=1
	s_mov_b64 s[16:17], 0
	s_mov_b64 s[18:19], 0
.LBB6_73:                               ;   Parent Loop BB6_35 Depth=1
                                        ; =>  This Inner Loop Header: Depth=2
	s_add_u32 s24, s14, s18
	s_addc_u32 s25, s15, s19
	s_add_u32 s18, s18, 1
	global_load_ubyte v6, v7, s[24:25]
	s_addc_u32 s19, s19, 0
	s_waitcnt vmcnt(0)
	v_and_b32_e32 v6, 0xffff, v6
	v_lshlrev_b64 v[20:21], s16, v[6:7]
	s_add_u32 s16, s16, 8
	s_addc_u32 s17, s17, 0
	s_cmp_lg_u32 s1, s18
	v_or_b32_e32 v18, v20, v18
	v_or_b32_e32 v19, v21, v19
	s_cbranch_scc1 .LBB6_73
.LBB6_74:                               ;   in Loop: Header=BB6_35 Depth=1
	s_mov_b64 s[16:17], s[14:15]
	s_mov_b32 s24, 0
	s_cbranch_execz .LBB6_76
	s_branch .LBB6_77
.LBB6_75:                               ;   in Loop: Header=BB6_35 Depth=1
                                        ; implicit-def: $vgpr18_vgpr19
	s_mov_b32 s24, 0
.LBB6_76:                               ;   in Loop: Header=BB6_35 Depth=1
	global_load_dwordx2 v[18:19], v7, s[14:15]
	s_add_i32 s24, s1, -8
.LBB6_77:                               ;   in Loop: Header=BB6_35 Depth=1
	s_cmp_gt_u32 s24, 7
	s_cbranch_scc1 .LBB6_82
; %bb.78:                               ;   in Loop: Header=BB6_35 Depth=1
	v_mov_b32_e32 v20, 0
	v_mov_b32_e32 v21, 0
	s_cmp_eq_u32 s24, 0
	s_cbranch_scc1 .LBB6_81
; %bb.79:                               ;   in Loop: Header=BB6_35 Depth=1
	s_mov_b64 s[14:15], 0
	s_mov_b64 s[18:19], s[16:17]
.LBB6_80:                               ;   Parent Loop BB6_35 Depth=1
                                        ; =>  This Inner Loop Header: Depth=2
	global_load_ubyte v6, v7, s[18:19]
	s_add_i32 s24, s24, -1
	s_waitcnt vmcnt(0)
	v_and_b32_e32 v6, 0xffff, v6
	v_lshlrev_b64 v[22:23], s14, v[6:7]
	s_add_u32 s14, s14, 8
	s_addc_u32 s15, s15, 0
	s_add_u32 s18, s18, 1
	s_addc_u32 s19, s19, 0
	s_cmp_lg_u32 s24, 0
	v_or_b32_e32 v20, v22, v20
	v_or_b32_e32 v21, v23, v21
	s_cbranch_scc1 .LBB6_80
.LBB6_81:                               ;   in Loop: Header=BB6_35 Depth=1
	s_cbranch_execz .LBB6_83
	s_branch .LBB6_84
.LBB6_82:                               ;   in Loop: Header=BB6_35 Depth=1
.LBB6_83:                               ;   in Loop: Header=BB6_35 Depth=1
	global_load_dwordx2 v[20:21], v7, s[16:17]
.LBB6_84:                               ;   in Loop: Header=BB6_35 Depth=1
	v_readfirstlane_b32 s1, v31
	v_mov_b32_e32 v27, 0
	v_mov_b32_e32 v28, 0
	v_cmp_eq_u32_e64 s1, s1, v31
	s_and_saveexec_b32 s14, s1
	s_cbranch_execz .LBB6_90
; %bb.85:                               ;   in Loop: Header=BB6_35 Depth=1
	global_load_dwordx2 v[24:25], v7, s[6:7] offset:24 glc dlc
	s_waitcnt vmcnt(0)
	buffer_gl1_inv
	buffer_gl0_inv
	s_clause 0x1
	global_load_dwordx2 v[22:23], v7, s[6:7] offset:40
	global_load_dwordx2 v[27:28], v7, s[6:7]
	s_mov_b32 s15, exec_lo
	s_waitcnt vmcnt(1)
	v_and_b32_e32 v6, v23, v25
	v_and_b32_e32 v22, v22, v24
	v_mul_lo_u32 v6, v6, 24
	v_mul_hi_u32 v23, v22, 24
	v_mul_lo_u32 v22, v22, 24
	v_add_nc_u32_e32 v6, v23, v6
	s_waitcnt vmcnt(0)
	v_add_co_u32 v22, vcc_lo, v27, v22
	v_add_co_ci_u32_e64 v23, null, v28, v6, vcc_lo
	global_load_dwordx2 v[22:23], v[22:23], off glc dlc
	s_waitcnt vmcnt(0)
	global_atomic_cmpswap_x2 v[27:28], v7, v[22:25], s[6:7] offset:24 glc
	s_waitcnt vmcnt(0)
	buffer_gl1_inv
	buffer_gl0_inv
	v_cmpx_ne_u64_e64 v[27:28], v[24:25]
	s_cbranch_execz .LBB6_89
; %bb.86:                               ;   in Loop: Header=BB6_35 Depth=1
	s_mov_b32 s16, 0
	.p2align	6
.LBB6_87:                               ;   Parent Loop BB6_35 Depth=1
                                        ; =>  This Inner Loop Header: Depth=2
	s_sleep 1
	s_clause 0x1
	global_load_dwordx2 v[22:23], v7, s[6:7] offset:40
	global_load_dwordx2 v[34:35], v7, s[6:7]
	v_mov_b32_e32 v24, v27
	v_mov_b32_e32 v25, v28
	s_waitcnt vmcnt(1)
	v_and_b32_e32 v6, v22, v24
	v_and_b32_e32 v22, v23, v25
	s_waitcnt vmcnt(0)
	v_mad_u64_u32 v[27:28], null, v6, 24, v[34:35]
	v_mov_b32_e32 v6, v28
	v_mad_u64_u32 v[22:23], null, v22, 24, v[6:7]
	v_mov_b32_e32 v28, v22
	global_load_dwordx2 v[22:23], v[27:28], off glc dlc
	s_waitcnt vmcnt(0)
	global_atomic_cmpswap_x2 v[27:28], v7, v[22:25], s[6:7] offset:24 glc
	s_waitcnt vmcnt(0)
	buffer_gl1_inv
	buffer_gl0_inv
	v_cmp_eq_u64_e32 vcc_lo, v[27:28], v[24:25]
	s_or_b32 s16, vcc_lo, s16
	s_andn2_b32 exec_lo, exec_lo, s16
	s_cbranch_execnz .LBB6_87
; %bb.88:                               ;   in Loop: Header=BB6_35 Depth=1
	s_or_b32 exec_lo, exec_lo, s16
.LBB6_89:                               ;   in Loop: Header=BB6_35 Depth=1
	s_or_b32 exec_lo, exec_lo, s15
.LBB6_90:                               ;   in Loop: Header=BB6_35 Depth=1
	s_or_b32 exec_lo, exec_lo, s14
	s_clause 0x1
	global_load_dwordx2 v[34:35], v7, s[6:7] offset:40
	global_load_dwordx4 v[22:25], v7, s[6:7]
	v_readfirstlane_b32 s15, v28
	v_readfirstlane_b32 s14, v27
	s_mov_b32 s18, exec_lo
	s_waitcnt vmcnt(1)
	v_readfirstlane_b32 s16, v34
	v_readfirstlane_b32 s17, v35
	s_and_b64 s[16:17], s[16:17], s[14:15]
	s_mul_i32 s19, s17, 24
	s_mul_hi_u32 s24, s16, 24
	s_mul_i32 s25, s16, 24
	s_add_i32 s24, s24, s19
	s_waitcnt vmcnt(0)
	v_add_co_u32 v27, vcc_lo, v22, s25
	v_add_co_ci_u32_e64 v28, null, s24, v23, vcc_lo
	s_and_saveexec_b32 s19, s1
	s_cbranch_execz .LBB6_92
; %bb.91:                               ;   in Loop: Header=BB6_35 Depth=1
	v_mov_b32_e32 v6, s18
	global_store_dwordx4 v[27:28], v[6:9], off offset:8
.LBB6_92:                               ;   in Loop: Header=BB6_35 Depth=1
	s_or_b32 exec_lo, exec_lo, s19
	v_cmp_lt_u64_e64 vcc_lo, s[10:11], 57
	s_lshl_b64 s[16:17], s[16:17], 12
	v_and_b32_e32 v2, 0xffffff1f, v2
	v_cndmask_b32_e32 v6, 0, v33, vcc_lo
	v_add_co_u32 v24, vcc_lo, v24, s16
	v_add_co_ci_u32_e64 v25, null, s17, v25, vcc_lo
	v_or_b32_e32 v2, v2, v6
	s_lshl_b32 s16, s12, 2
	s_add_i32 s18, s16, 28
	v_readfirstlane_b32 s16, v24
	v_readfirstlane_b32 s17, v25
	v_and_or_b32 v2, 0x1e0, s18, v2
	global_store_dwordx4 v30, v[10:13], s[16:17] offset:16
	global_store_dwordx4 v30, v[2:5], s[16:17]
	global_store_dwordx4 v30, v[14:17], s[16:17] offset:32
	global_store_dwordx4 v30, v[18:21], s[16:17] offset:48
	s_and_saveexec_b32 s16, s1
	s_cbranch_execz .LBB6_100
; %bb.93:                               ;   in Loop: Header=BB6_35 Depth=1
	s_clause 0x1
	global_load_dwordx2 v[14:15], v7, s[6:7] offset:32 glc dlc
	global_load_dwordx2 v[2:3], v7, s[6:7] offset:40
	v_mov_b32_e32 v12, s14
	v_mov_b32_e32 v13, s15
	s_waitcnt vmcnt(0)
	v_readfirstlane_b32 s18, v2
	v_readfirstlane_b32 s19, v3
	s_and_b64 s[18:19], s[18:19], s[14:15]
	s_mul_i32 s17, s19, 24
	s_mul_hi_u32 s19, s18, 24
	s_mul_i32 s18, s18, 24
	s_add_i32 s19, s19, s17
	v_add_co_u32 v10, vcc_lo, v22, s18
	v_add_co_ci_u32_e64 v11, null, s19, v23, vcc_lo
	s_mov_b32 s17, exec_lo
	global_store_dwordx2 v[10:11], v[14:15], off
	s_waitcnt_vscnt null, 0x0
	global_atomic_cmpswap_x2 v[4:5], v7, v[12:15], s[6:7] offset:32 glc
	s_waitcnt vmcnt(0)
	v_cmpx_ne_u64_e64 v[4:5], v[14:15]
	s_cbranch_execz .LBB6_96
; %bb.94:                               ;   in Loop: Header=BB6_35 Depth=1
	s_mov_b32 s18, 0
.LBB6_95:                               ;   Parent Loop BB6_35 Depth=1
                                        ; =>  This Inner Loop Header: Depth=2
	v_mov_b32_e32 v2, s14
	v_mov_b32_e32 v3, s15
	s_sleep 1
	global_store_dwordx2 v[10:11], v[4:5], off
	s_waitcnt_vscnt null, 0x0
	global_atomic_cmpswap_x2 v[2:3], v7, v[2:5], s[6:7] offset:32 glc
	s_waitcnt vmcnt(0)
	v_cmp_eq_u64_e32 vcc_lo, v[2:3], v[4:5]
	v_mov_b32_e32 v5, v3
	v_mov_b32_e32 v4, v2
	s_or_b32 s18, vcc_lo, s18
	s_andn2_b32 exec_lo, exec_lo, s18
	s_cbranch_execnz .LBB6_95
.LBB6_96:                               ;   in Loop: Header=BB6_35 Depth=1
	s_or_b32 exec_lo, exec_lo, s17
	global_load_dwordx2 v[2:3], v7, s[6:7] offset:16
	s_mov_b32 s18, exec_lo
	s_mov_b32 s17, exec_lo
	v_mbcnt_lo_u32_b32 v4, s18, 0
	v_cmpx_eq_u32_e32 0, v4
	s_cbranch_execz .LBB6_98
; %bb.97:                               ;   in Loop: Header=BB6_35 Depth=1
	s_bcnt1_i32_b32 s18, s18
	v_mov_b32_e32 v6, s18
	s_waitcnt vmcnt(0)
	global_atomic_add_x2 v[2:3], v[6:7], off offset:8
.LBB6_98:                               ;   in Loop: Header=BB6_35 Depth=1
	s_or_b32 exec_lo, exec_lo, s17
	s_waitcnt vmcnt(0)
	global_load_dwordx2 v[4:5], v[2:3], off offset:16
	s_waitcnt vmcnt(0)
	v_cmp_eq_u64_e32 vcc_lo, 0, v[4:5]
	s_cbranch_vccnz .LBB6_100
; %bb.99:                               ;   in Loop: Header=BB6_35 Depth=1
	global_load_dword v6, v[2:3], off offset:24
	s_waitcnt vmcnt(0)
	v_readfirstlane_b32 s17, v6
	s_waitcnt_vscnt null, 0x0
	global_store_dwordx2 v[4:5], v[6:7], off
	s_and_b32 m0, s17, 0x7fffff
	s_sendmsg sendmsg(MSG_INTERRUPT)
.LBB6_100:                              ;   in Loop: Header=BB6_35 Depth=1
	s_or_b32 exec_lo, exec_lo, s16
	v_add_co_u32 v2, vcc_lo, v24, v30
	v_add_co_ci_u32_e64 v3, null, 0, v25, vcc_lo
	s_branch .LBB6_104
	.p2align	6
.LBB6_101:                              ;   in Loop: Header=BB6_104 Depth=2
	s_or_b32 exec_lo, exec_lo, s16
	v_readfirstlane_b32 s16, v4
	s_cmp_eq_u32 s16, 0
	s_cbranch_scc1 .LBB6_103
; %bb.102:                              ;   in Loop: Header=BB6_104 Depth=2
	s_sleep 1
	s_cbranch_execnz .LBB6_104
	s_branch .LBB6_106
	.p2align	6
.LBB6_103:                              ;   in Loop: Header=BB6_35 Depth=1
	s_branch .LBB6_106
.LBB6_104:                              ;   Parent Loop BB6_35 Depth=1
                                        ; =>  This Inner Loop Header: Depth=2
	v_mov_b32_e32 v4, 1
	s_and_saveexec_b32 s16, s1
	s_cbranch_execz .LBB6_101
; %bb.105:                              ;   in Loop: Header=BB6_104 Depth=2
	global_load_dword v4, v[27:28], off offset:20 glc dlc
	s_waitcnt vmcnt(0)
	buffer_gl1_inv
	buffer_gl0_inv
	v_and_b32_e32 v4, 1, v4
	s_branch .LBB6_101
.LBB6_106:                              ;   in Loop: Header=BB6_35 Depth=1
	global_load_dwordx2 v[2:3], v[2:3], off
	s_and_saveexec_b32 s16, s1
	s_cbranch_execz .LBB6_34
; %bb.107:                              ;   in Loop: Header=BB6_35 Depth=1
	s_clause 0x2
	global_load_dwordx2 v[4:5], v7, s[6:7] offset:40
	global_load_dwordx2 v[14:15], v7, s[6:7] offset:24 glc dlc
	global_load_dwordx2 v[10:11], v7, s[6:7]
	s_waitcnt vmcnt(2)
	v_readfirstlane_b32 s18, v4
	v_readfirstlane_b32 s19, v5
	s_add_u32 s1, s18, 1
	s_addc_u32 s17, s19, 0
	s_add_u32 s14, s1, s14
	s_addc_u32 s15, s17, s15
	s_cmp_eq_u64 s[14:15], 0
	s_cselect_b32 s15, s17, s15
	s_cselect_b32 s14, s1, s14
	v_mov_b32_e32 v13, s15
	s_and_b64 s[18:19], s[14:15], s[18:19]
	v_mov_b32_e32 v12, s14
	s_mul_i32 s1, s19, 24
	s_mul_hi_u32 s17, s18, 24
	s_mul_i32 s18, s18, 24
	s_add_i32 s17, s17, s1
	s_waitcnt vmcnt(0)
	v_add_co_u32 v4, vcc_lo, v10, s18
	v_add_co_ci_u32_e64 v5, null, s17, v11, vcc_lo
	global_store_dwordx2 v[4:5], v[14:15], off
	s_waitcnt_vscnt null, 0x0
	global_atomic_cmpswap_x2 v[12:13], v7, v[12:15], s[6:7] offset:24 glc
	s_waitcnt vmcnt(0)
	v_cmp_ne_u64_e32 vcc_lo, v[12:13], v[14:15]
	s_and_b32 exec_lo, exec_lo, vcc_lo
	s_cbranch_execz .LBB6_34
; %bb.108:                              ;   in Loop: Header=BB6_35 Depth=1
	s_mov_b32 s1, 0
.LBB6_109:                              ;   Parent Loop BB6_35 Depth=1
                                        ; =>  This Inner Loop Header: Depth=2
	v_mov_b32_e32 v10, s14
	v_mov_b32_e32 v11, s15
	s_sleep 1
	global_store_dwordx2 v[4:5], v[12:13], off
	s_waitcnt_vscnt null, 0x0
	global_atomic_cmpswap_x2 v[10:11], v7, v[10:13], s[6:7] offset:24 glc
	s_waitcnt vmcnt(0)
	v_cmp_eq_u64_e32 vcc_lo, v[10:11], v[12:13]
	v_mov_b32_e32 v13, v11
	v_mov_b32_e32 v12, v10
	s_or_b32 s1, vcc_lo, s1
	s_andn2_b32 exec_lo, exec_lo, s1
	s_cbranch_execnz .LBB6_109
	s_branch .LBB6_34
.LBB6_110:
	s_branch .LBB6_139
.LBB6_111:
                                        ; implicit-def: $vgpr2_vgpr3
	s_cbranch_execz .LBB6_139
; %bb.112:
	v_readfirstlane_b32 s1, v31
	v_mov_b32_e32 v8, 0
	v_mov_b32_e32 v9, 0
	v_cmp_eq_u32_e64 s1, s1, v31
	s_and_saveexec_b32 s8, s1
	s_cbranch_execz .LBB6_118
; %bb.113:
	s_waitcnt vmcnt(0)
	v_mov_b32_e32 v2, 0
	s_mov_b32 s9, exec_lo
	global_load_dwordx2 v[5:6], v2, s[6:7] offset:24 glc dlc
	s_waitcnt vmcnt(0)
	buffer_gl1_inv
	buffer_gl0_inv
	s_clause 0x1
	global_load_dwordx2 v[3:4], v2, s[6:7] offset:40
	global_load_dwordx2 v[7:8], v2, s[6:7]
	s_waitcnt vmcnt(1)
	v_and_b32_e32 v4, v4, v6
	v_and_b32_e32 v3, v3, v5
	v_mul_lo_u32 v4, v4, 24
	v_mul_hi_u32 v9, v3, 24
	v_mul_lo_u32 v3, v3, 24
	v_add_nc_u32_e32 v4, v9, v4
	s_waitcnt vmcnt(0)
	v_add_co_u32 v3, vcc_lo, v7, v3
	v_add_co_ci_u32_e64 v4, null, v8, v4, vcc_lo
	global_load_dwordx2 v[3:4], v[3:4], off glc dlc
	s_waitcnt vmcnt(0)
	global_atomic_cmpswap_x2 v[8:9], v2, v[3:6], s[6:7] offset:24 glc
	s_waitcnt vmcnt(0)
	buffer_gl1_inv
	buffer_gl0_inv
	v_cmpx_ne_u64_e64 v[8:9], v[5:6]
	s_cbranch_execz .LBB6_117
; %bb.114:
	s_mov_b32 s10, 0
	.p2align	6
.LBB6_115:                              ; =>This Inner Loop Header: Depth=1
	s_sleep 1
	s_clause 0x1
	global_load_dwordx2 v[3:4], v2, s[6:7] offset:40
	global_load_dwordx2 v[10:11], v2, s[6:7]
	v_mov_b32_e32 v5, v8
	v_mov_b32_e32 v6, v9
	s_waitcnt vmcnt(1)
	v_and_b32_e32 v3, v3, v5
	v_and_b32_e32 v4, v4, v6
	s_waitcnt vmcnt(0)
	v_mad_u64_u32 v[7:8], null, v3, 24, v[10:11]
	v_mov_b32_e32 v3, v8
	v_mad_u64_u32 v[3:4], null, v4, 24, v[3:4]
	v_mov_b32_e32 v8, v3
	global_load_dwordx2 v[3:4], v[7:8], off glc dlc
	s_waitcnt vmcnt(0)
	global_atomic_cmpswap_x2 v[8:9], v2, v[3:6], s[6:7] offset:24 glc
	s_waitcnt vmcnt(0)
	buffer_gl1_inv
	buffer_gl0_inv
	v_cmp_eq_u64_e32 vcc_lo, v[8:9], v[5:6]
	s_or_b32 s10, vcc_lo, s10
	s_andn2_b32 exec_lo, exec_lo, s10
	s_cbranch_execnz .LBB6_115
; %bb.116:
	s_or_b32 exec_lo, exec_lo, s10
.LBB6_117:
	s_or_b32 exec_lo, exec_lo, s9
.LBB6_118:
	s_or_b32 exec_lo, exec_lo, s8
	s_waitcnt vmcnt(0)
	v_mov_b32_e32 v2, 0
	v_readfirstlane_b32 s9, v9
	v_readfirstlane_b32 s8, v8
	s_mov_b32 s12, exec_lo
	s_clause 0x1
	global_load_dwordx2 v[10:11], v2, s[6:7] offset:40
	global_load_dwordx4 v[4:7], v2, s[6:7]
	s_waitcnt vmcnt(1)
	v_readfirstlane_b32 s10, v10
	v_readfirstlane_b32 s11, v11
	s_and_b64 s[10:11], s[10:11], s[8:9]
	s_mul_i32 s13, s11, 24
	s_mul_hi_u32 s14, s10, 24
	s_mul_i32 s15, s10, 24
	s_add_i32 s14, s14, s13
	s_waitcnt vmcnt(0)
	v_add_co_u32 v8, vcc_lo, v4, s15
	v_add_co_ci_u32_e64 v9, null, s14, v5, vcc_lo
	s_and_saveexec_b32 s13, s1
	s_cbranch_execz .LBB6_120
; %bb.119:
	v_mov_b32_e32 v10, s12
	v_mov_b32_e32 v11, v2
	;; [unrolled: 1-line block ×4, first 2 shown]
	global_store_dwordx4 v[8:9], v[10:13], off offset:8
.LBB6_120:
	s_or_b32 exec_lo, exec_lo, s13
	s_lshl_b64 s[10:11], s[10:11], 12
	s_mov_b32 s12, 0
	v_add_co_u32 v6, vcc_lo, v6, s10
	v_add_co_ci_u32_e64 v7, null, s11, v7, vcc_lo
	s_mov_b32 s13, s12
	v_readfirstlane_b32 s10, v6
	v_add_co_u32 v6, vcc_lo, v6, v30
	s_mov_b32 s14, s12
	s_mov_b32 s15, s12
	v_and_or_b32 v0, 0xffffff1f, v0, 32
	v_mov_b32_e32 v3, v2
	v_readfirstlane_b32 s11, v7
	v_mov_b32_e32 v10, s12
	v_add_co_ci_u32_e64 v7, null, 0, v7, vcc_lo
	v_mov_b32_e32 v11, s13
	v_mov_b32_e32 v12, s14
	;; [unrolled: 1-line block ×3, first 2 shown]
	global_store_dwordx4 v30, v[0:3], s[10:11]
	global_store_dwordx4 v30, v[10:13], s[10:11] offset:16
	global_store_dwordx4 v30, v[10:13], s[10:11] offset:32
	;; [unrolled: 1-line block ×3, first 2 shown]
	s_and_saveexec_b32 s10, s1
	s_cbranch_execz .LBB6_128
; %bb.121:
	v_mov_b32_e32 v10, 0
	v_mov_b32_e32 v11, s8
	;; [unrolled: 1-line block ×3, first 2 shown]
	s_clause 0x1
	global_load_dwordx2 v[13:14], v10, s[6:7] offset:32 glc dlc
	global_load_dwordx2 v[0:1], v10, s[6:7] offset:40
	s_waitcnt vmcnt(0)
	v_readfirstlane_b32 s12, v0
	v_readfirstlane_b32 s13, v1
	s_and_b64 s[12:13], s[12:13], s[8:9]
	s_mul_i32 s11, s13, 24
	s_mul_hi_u32 s13, s12, 24
	s_mul_i32 s12, s12, 24
	s_add_i32 s13, s13, s11
	v_add_co_u32 v4, vcc_lo, v4, s12
	v_add_co_ci_u32_e64 v5, null, s13, v5, vcc_lo
	s_mov_b32 s11, exec_lo
	global_store_dwordx2 v[4:5], v[13:14], off
	s_waitcnt_vscnt null, 0x0
	global_atomic_cmpswap_x2 v[2:3], v10, v[11:14], s[6:7] offset:32 glc
	s_waitcnt vmcnt(0)
	v_cmpx_ne_u64_e64 v[2:3], v[13:14]
	s_cbranch_execz .LBB6_124
; %bb.122:
	s_mov_b32 s12, 0
.LBB6_123:                              ; =>This Inner Loop Header: Depth=1
	v_mov_b32_e32 v0, s8
	v_mov_b32_e32 v1, s9
	s_sleep 1
	global_store_dwordx2 v[4:5], v[2:3], off
	s_waitcnt_vscnt null, 0x0
	global_atomic_cmpswap_x2 v[0:1], v10, v[0:3], s[6:7] offset:32 glc
	s_waitcnt vmcnt(0)
	v_cmp_eq_u64_e32 vcc_lo, v[0:1], v[2:3]
	v_mov_b32_e32 v3, v1
	v_mov_b32_e32 v2, v0
	s_or_b32 s12, vcc_lo, s12
	s_andn2_b32 exec_lo, exec_lo, s12
	s_cbranch_execnz .LBB6_123
.LBB6_124:
	s_or_b32 exec_lo, exec_lo, s11
	v_mov_b32_e32 v3, 0
	s_mov_b32 s12, exec_lo
	s_mov_b32 s11, exec_lo
	v_mbcnt_lo_u32_b32 v2, s12, 0
	global_load_dwordx2 v[0:1], v3, s[6:7] offset:16
	v_cmpx_eq_u32_e32 0, v2
	s_cbranch_execz .LBB6_126
; %bb.125:
	s_bcnt1_i32_b32 s12, s12
	v_mov_b32_e32 v2, s12
	s_waitcnt vmcnt(0)
	global_atomic_add_x2 v[0:1], v[2:3], off offset:8
.LBB6_126:
	s_or_b32 exec_lo, exec_lo, s11
	s_waitcnt vmcnt(0)
	global_load_dwordx2 v[2:3], v[0:1], off offset:16
	s_waitcnt vmcnt(0)
	v_cmp_eq_u64_e32 vcc_lo, 0, v[2:3]
	s_cbranch_vccnz .LBB6_128
; %bb.127:
	global_load_dword v0, v[0:1], off offset:24
	v_mov_b32_e32 v1, 0
	s_waitcnt vmcnt(0)
	v_readfirstlane_b32 s11, v0
	s_waitcnt_vscnt null, 0x0
	global_store_dwordx2 v[2:3], v[0:1], off
	s_and_b32 m0, s11, 0x7fffff
	s_sendmsg sendmsg(MSG_INTERRUPT)
.LBB6_128:
	s_or_b32 exec_lo, exec_lo, s10
	s_branch .LBB6_132
	.p2align	6
.LBB6_129:                              ;   in Loop: Header=BB6_132 Depth=1
	s_or_b32 exec_lo, exec_lo, s10
	v_readfirstlane_b32 s10, v0
	s_cmp_eq_u32 s10, 0
	s_cbranch_scc1 .LBB6_131
; %bb.130:                              ;   in Loop: Header=BB6_132 Depth=1
	s_sleep 1
	s_cbranch_execnz .LBB6_132
	s_branch .LBB6_134
	.p2align	6
.LBB6_131:
	s_branch .LBB6_134
.LBB6_132:                              ; =>This Inner Loop Header: Depth=1
	v_mov_b32_e32 v0, 1
	s_and_saveexec_b32 s10, s1
	s_cbranch_execz .LBB6_129
; %bb.133:                              ;   in Loop: Header=BB6_132 Depth=1
	global_load_dword v0, v[8:9], off offset:20 glc dlc
	s_waitcnt vmcnt(0)
	buffer_gl1_inv
	buffer_gl0_inv
	v_and_b32_e32 v0, 1, v0
	s_branch .LBB6_129
.LBB6_134:
	global_load_dwordx2 v[2:3], v[6:7], off
	s_and_saveexec_b32 s10, s1
	s_cbranch_execz .LBB6_138
; %bb.135:
	v_mov_b32_e32 v8, 0
	s_clause 0x2
	global_load_dwordx2 v[0:1], v8, s[6:7] offset:40
	global_load_dwordx2 v[11:12], v8, s[6:7] offset:24 glc dlc
	global_load_dwordx2 v[4:5], v8, s[6:7]
	s_waitcnt vmcnt(2)
	v_readfirstlane_b32 s12, v0
	v_readfirstlane_b32 s13, v1
	s_add_u32 s1, s12, 1
	s_addc_u32 s11, s13, 0
	s_add_u32 s8, s1, s8
	s_addc_u32 s9, s11, s9
	s_cmp_eq_u64 s[8:9], 0
	s_cselect_b32 s9, s11, s9
	s_cselect_b32 s8, s1, s8
	v_mov_b32_e32 v10, s9
	s_and_b64 s[12:13], s[8:9], s[12:13]
	v_mov_b32_e32 v9, s8
	s_mul_i32 s1, s13, 24
	s_mul_hi_u32 s11, s12, 24
	s_mul_i32 s12, s12, 24
	s_add_i32 s11, s11, s1
	s_waitcnt vmcnt(0)
	v_add_co_u32 v0, vcc_lo, v4, s12
	v_add_co_ci_u32_e64 v1, null, s11, v5, vcc_lo
	global_store_dwordx2 v[0:1], v[11:12], off
	s_waitcnt_vscnt null, 0x0
	global_atomic_cmpswap_x2 v[6:7], v8, v[9:12], s[6:7] offset:24 glc
	s_waitcnt vmcnt(0)
	v_cmp_ne_u64_e32 vcc_lo, v[6:7], v[11:12]
	s_and_b32 exec_lo, exec_lo, vcc_lo
	s_cbranch_execz .LBB6_138
; %bb.136:
	s_mov_b32 s1, 0
.LBB6_137:                              ; =>This Inner Loop Header: Depth=1
	v_mov_b32_e32 v4, s8
	v_mov_b32_e32 v5, s9
	s_sleep 1
	global_store_dwordx2 v[0:1], v[6:7], off
	s_waitcnt_vscnt null, 0x0
	global_atomic_cmpswap_x2 v[4:5], v8, v[4:7], s[6:7] offset:24 glc
	s_waitcnt vmcnt(0)
	v_cmp_eq_u64_e32 vcc_lo, v[4:5], v[6:7]
	v_mov_b32_e32 v7, v5
	v_mov_b32_e32 v6, v4
	s_or_b32 s1, vcc_lo, s1
	s_andn2_b32 exec_lo, exec_lo, s1
	s_cbranch_execnz .LBB6_137
.LBB6_138:
	s_or_b32 exec_lo, exec_lo, s10
.LBB6_139:
	v_readfirstlane_b32 s1, v31
	s_waitcnt vmcnt(0)
	v_mov_b32_e32 v0, 0
	v_mov_b32_e32 v1, 0
	v_cmp_eq_u32_e64 s1, s1, v31
	s_and_saveexec_b32 s8, s1
	s_cbranch_execz .LBB6_145
; %bb.140:
	v_mov_b32_e32 v4, 0
	s_mov_b32 s9, exec_lo
	global_load_dwordx2 v[7:8], v4, s[6:7] offset:24 glc dlc
	s_waitcnt vmcnt(0)
	buffer_gl1_inv
	buffer_gl0_inv
	s_clause 0x1
	global_load_dwordx2 v[0:1], v4, s[6:7] offset:40
	global_load_dwordx2 v[5:6], v4, s[6:7]
	s_waitcnt vmcnt(1)
	v_and_b32_e32 v1, v1, v8
	v_and_b32_e32 v0, v0, v7
	v_mul_lo_u32 v1, v1, 24
	v_mul_hi_u32 v9, v0, 24
	v_mul_lo_u32 v0, v0, 24
	v_add_nc_u32_e32 v1, v9, v1
	s_waitcnt vmcnt(0)
	v_add_co_u32 v0, vcc_lo, v5, v0
	v_add_co_ci_u32_e64 v1, null, v6, v1, vcc_lo
	global_load_dwordx2 v[5:6], v[0:1], off glc dlc
	s_waitcnt vmcnt(0)
	global_atomic_cmpswap_x2 v[0:1], v4, v[5:8], s[6:7] offset:24 glc
	s_waitcnt vmcnt(0)
	buffer_gl1_inv
	buffer_gl0_inv
	v_cmpx_ne_u64_e64 v[0:1], v[7:8]
	s_cbranch_execz .LBB6_144
; %bb.141:
	s_mov_b32 s10, 0
	.p2align	6
.LBB6_142:                              ; =>This Inner Loop Header: Depth=1
	s_sleep 1
	s_clause 0x1
	global_load_dwordx2 v[5:6], v4, s[6:7] offset:40
	global_load_dwordx2 v[9:10], v4, s[6:7]
	v_mov_b32_e32 v8, v1
	v_mov_b32_e32 v7, v0
	s_waitcnt vmcnt(1)
	v_and_b32_e32 v0, v5, v7
	v_and_b32_e32 v5, v6, v8
	s_waitcnt vmcnt(0)
	v_mad_u64_u32 v[0:1], null, v0, 24, v[9:10]
	v_mad_u64_u32 v[5:6], null, v5, 24, v[1:2]
	v_mov_b32_e32 v1, v5
	global_load_dwordx2 v[5:6], v[0:1], off glc dlc
	s_waitcnt vmcnt(0)
	global_atomic_cmpswap_x2 v[0:1], v4, v[5:8], s[6:7] offset:24 glc
	s_waitcnt vmcnt(0)
	buffer_gl1_inv
	buffer_gl0_inv
	v_cmp_eq_u64_e32 vcc_lo, v[0:1], v[7:8]
	s_or_b32 s10, vcc_lo, s10
	s_andn2_b32 exec_lo, exec_lo, s10
	s_cbranch_execnz .LBB6_142
; %bb.143:
	s_or_b32 exec_lo, exec_lo, s10
.LBB6_144:
	s_or_b32 exec_lo, exec_lo, s9
.LBB6_145:
	s_or_b32 exec_lo, exec_lo, s8
	v_mov_b32_e32 v5, 0
	v_readfirstlane_b32 s9, v1
	v_readfirstlane_b32 s8, v0
	s_mov_b32 s12, exec_lo
	s_clause 0x1
	global_load_dwordx2 v[10:11], v5, s[6:7] offset:40
	global_load_dwordx4 v[6:9], v5, s[6:7]
	s_waitcnt vmcnt(1)
	v_readfirstlane_b32 s10, v10
	v_readfirstlane_b32 s11, v11
	s_and_b64 s[10:11], s[10:11], s[8:9]
	s_mul_i32 s13, s11, 24
	s_mul_hi_u32 s14, s10, 24
	s_mul_i32 s15, s10, 24
	s_add_i32 s14, s14, s13
	s_waitcnt vmcnt(0)
	v_add_co_u32 v10, vcc_lo, v6, s15
	v_add_co_ci_u32_e64 v11, null, s14, v7, vcc_lo
	s_and_saveexec_b32 s13, s1
	s_cbranch_execz .LBB6_147
; %bb.146:
	v_mov_b32_e32 v4, s12
	v_mov_b32_e32 v13, v5
	;; [unrolled: 1-line block ×5, first 2 shown]
	global_store_dwordx4 v[10:11], v[12:15], off offset:8
.LBB6_147:
	s_or_b32 exec_lo, exec_lo, s13
	s_lshl_b64 s[10:11], s[10:11], 12
	s_mov_b32 s16, 0
	v_add_co_u32 v0, vcc_lo, v8, s10
	v_add_co_ci_u32_e64 v1, null, s11, v9, vcc_lo
	s_add_i32 s12, s20, -1
	v_add_co_u32 v8, vcc_lo, v0, v30
	s_mov_b32 s17, s16
	s_mov_b32 s18, s16
	;; [unrolled: 1-line block ×3, first 2 shown]
	v_and_or_b32 v2, 0xffffff1f, v2, 32
	v_mov_b32_e32 v4, s12
	v_readfirstlane_b32 s10, v0
	v_readfirstlane_b32 s11, v1
	v_mov_b32_e32 v12, s16
	v_add_co_ci_u32_e64 v9, null, 0, v1, vcc_lo
	v_mov_b32_e32 v13, s17
	v_mov_b32_e32 v14, s18
	v_mov_b32_e32 v15, s19
	global_store_dwordx4 v30, v[2:5], s[10:11]
	global_store_dwordx4 v30, v[12:15], s[10:11] offset:16
	global_store_dwordx4 v30, v[12:15], s[10:11] offset:32
	global_store_dwordx4 v30, v[12:15], s[10:11] offset:48
	s_and_saveexec_b32 s10, s1
	s_cbranch_execz .LBB6_155
; %bb.148:
	v_mov_b32_e32 v12, 0
	v_mov_b32_e32 v13, s8
	;; [unrolled: 1-line block ×3, first 2 shown]
	s_clause 0x1
	global_load_dwordx2 v[15:16], v12, s[6:7] offset:32 glc dlc
	global_load_dwordx2 v[0:1], v12, s[6:7] offset:40
	s_waitcnt vmcnt(0)
	v_readfirstlane_b32 s14, v0
	v_readfirstlane_b32 s15, v1
	s_and_b64 s[14:15], s[14:15], s[8:9]
	s_mul_i32 s11, s15, 24
	s_mul_hi_u32 s13, s14, 24
	s_mul_i32 s14, s14, 24
	s_add_i32 s13, s13, s11
	v_add_co_u32 v4, vcc_lo, v6, s14
	v_add_co_ci_u32_e64 v5, null, s13, v7, vcc_lo
	s_mov_b32 s11, exec_lo
	global_store_dwordx2 v[4:5], v[15:16], off
	s_waitcnt_vscnt null, 0x0
	global_atomic_cmpswap_x2 v[2:3], v12, v[13:16], s[6:7] offset:32 glc
	s_waitcnt vmcnt(0)
	v_cmpx_ne_u64_e64 v[2:3], v[15:16]
	s_cbranch_execz .LBB6_151
; %bb.149:
	s_mov_b32 s13, 0
.LBB6_150:                              ; =>This Inner Loop Header: Depth=1
	v_mov_b32_e32 v0, s8
	v_mov_b32_e32 v1, s9
	s_sleep 1
	global_store_dwordx2 v[4:5], v[2:3], off
	s_waitcnt_vscnt null, 0x0
	global_atomic_cmpswap_x2 v[0:1], v12, v[0:3], s[6:7] offset:32 glc
	s_waitcnt vmcnt(0)
	v_cmp_eq_u64_e32 vcc_lo, v[0:1], v[2:3]
	v_mov_b32_e32 v3, v1
	v_mov_b32_e32 v2, v0
	s_or_b32 s13, vcc_lo, s13
	s_andn2_b32 exec_lo, exec_lo, s13
	s_cbranch_execnz .LBB6_150
.LBB6_151:
	s_or_b32 exec_lo, exec_lo, s11
	v_mov_b32_e32 v3, 0
	s_mov_b32 s13, exec_lo
	s_mov_b32 s11, exec_lo
	v_mbcnt_lo_u32_b32 v2, s13, 0
	global_load_dwordx2 v[0:1], v3, s[6:7] offset:16
	v_cmpx_eq_u32_e32 0, v2
	s_cbranch_execz .LBB6_153
; %bb.152:
	s_bcnt1_i32_b32 s13, s13
	v_mov_b32_e32 v2, s13
	s_waitcnt vmcnt(0)
	global_atomic_add_x2 v[0:1], v[2:3], off offset:8
.LBB6_153:
	s_or_b32 exec_lo, exec_lo, s11
	s_waitcnt vmcnt(0)
	global_load_dwordx2 v[2:3], v[0:1], off offset:16
	s_waitcnt vmcnt(0)
	v_cmp_eq_u64_e32 vcc_lo, 0, v[2:3]
	s_cbranch_vccnz .LBB6_155
; %bb.154:
	global_load_dword v0, v[0:1], off offset:24
	v_mov_b32_e32 v1, 0
	s_waitcnt vmcnt(0)
	v_readfirstlane_b32 s11, v0
	s_waitcnt_vscnt null, 0x0
	global_store_dwordx2 v[2:3], v[0:1], off
	s_and_b32 m0, s11, 0x7fffff
	s_sendmsg sendmsg(MSG_INTERRUPT)
.LBB6_155:
	s_or_b32 exec_lo, exec_lo, s10
	s_branch .LBB6_159
	.p2align	6
.LBB6_156:                              ;   in Loop: Header=BB6_159 Depth=1
	s_or_b32 exec_lo, exec_lo, s10
	v_readfirstlane_b32 s10, v0
	s_cmp_eq_u32 s10, 0
	s_cbranch_scc1 .LBB6_158
; %bb.157:                              ;   in Loop: Header=BB6_159 Depth=1
	s_sleep 1
	s_cbranch_execnz .LBB6_159
	s_branch .LBB6_161
	.p2align	6
.LBB6_158:
	s_branch .LBB6_161
.LBB6_159:                              ; =>This Inner Loop Header: Depth=1
	v_mov_b32_e32 v0, 1
	s_and_saveexec_b32 s10, s1
	s_cbranch_execz .LBB6_156
; %bb.160:                              ;   in Loop: Header=BB6_159 Depth=1
	global_load_dword v0, v[10:11], off offset:20 glc dlc
	s_waitcnt vmcnt(0)
	buffer_gl1_inv
	buffer_gl0_inv
	v_and_b32_e32 v0, 1, v0
	s_branch .LBB6_156
.LBB6_161:
	global_load_dwordx2 v[0:1], v[8:9], off
	s_and_saveexec_b32 s10, s1
	s_cbranch_execz .LBB6_165
; %bb.162:
	v_mov_b32_e32 v8, 0
	s_clause 0x2
	global_load_dwordx2 v[2:3], v8, s[6:7] offset:40
	global_load_dwordx2 v[11:12], v8, s[6:7] offset:24 glc dlc
	global_load_dwordx2 v[4:5], v8, s[6:7]
	s_waitcnt vmcnt(2)
	v_readfirstlane_b32 s14, v2
	v_readfirstlane_b32 s15, v3
	s_add_u32 s1, s14, 1
	s_addc_u32 s11, s15, 0
	s_add_u32 s8, s1, s8
	s_addc_u32 s9, s11, s9
	s_cmp_eq_u64 s[8:9], 0
	s_cselect_b32 s9, s11, s9
	s_cselect_b32 s8, s1, s8
	v_mov_b32_e32 v10, s9
	s_and_b64 s[14:15], s[8:9], s[14:15]
	v_mov_b32_e32 v9, s8
	s_mul_i32 s1, s15, 24
	s_mul_hi_u32 s11, s14, 24
	s_mul_i32 s13, s14, 24
	s_add_i32 s11, s11, s1
	s_waitcnt vmcnt(0)
	v_add_co_u32 v6, vcc_lo, v4, s13
	v_add_co_ci_u32_e64 v7, null, s11, v5, vcc_lo
	global_store_dwordx2 v[6:7], v[11:12], off
	s_waitcnt_vscnt null, 0x0
	global_atomic_cmpswap_x2 v[4:5], v8, v[9:12], s[6:7] offset:24 glc
	s_waitcnt vmcnt(0)
	v_cmp_ne_u64_e32 vcc_lo, v[4:5], v[11:12]
	s_and_b32 exec_lo, exec_lo, vcc_lo
	s_cbranch_execz .LBB6_165
; %bb.163:
	s_mov_b32 s1, 0
.LBB6_164:                              ; =>This Inner Loop Header: Depth=1
	v_mov_b32_e32 v2, s8
	v_mov_b32_e32 v3, s9
	s_sleep 1
	global_store_dwordx2 v[6:7], v[4:5], off
	s_waitcnt_vscnt null, 0x0
	global_atomic_cmpswap_x2 v[2:3], v8, v[2:5], s[6:7] offset:24 glc
	s_waitcnt vmcnt(0)
	v_cmp_eq_u64_e32 vcc_lo, v[2:3], v[4:5]
	v_mov_b32_e32 v5, v3
	v_mov_b32_e32 v4, v2
	s_or_b32 s1, vcc_lo, s1
	s_andn2_b32 exec_lo, exec_lo, s1
	s_cbranch_execnz .LBB6_164
.LBB6_165:
	s_or_b32 exec_lo, exec_lo, s10
	v_readfirstlane_b32 s1, v31
	v_mov_b32_e32 v8, 0
	v_mov_b32_e32 v9, 0
	v_cmp_eq_u32_e64 s1, s1, v31
	s_and_saveexec_b32 s8, s1
	s_cbranch_execz .LBB6_171
; %bb.166:
	v_mov_b32_e32 v2, 0
	s_mov_b32 s9, exec_lo
	global_load_dwordx2 v[5:6], v2, s[6:7] offset:24 glc dlc
	s_waitcnt vmcnt(0)
	buffer_gl1_inv
	buffer_gl0_inv
	s_clause 0x1
	global_load_dwordx2 v[3:4], v2, s[6:7] offset:40
	global_load_dwordx2 v[7:8], v2, s[6:7]
	s_waitcnt vmcnt(1)
	v_and_b32_e32 v4, v4, v6
	v_and_b32_e32 v3, v3, v5
	v_mul_lo_u32 v4, v4, 24
	v_mul_hi_u32 v9, v3, 24
	v_mul_lo_u32 v3, v3, 24
	v_add_nc_u32_e32 v4, v9, v4
	s_waitcnt vmcnt(0)
	v_add_co_u32 v3, vcc_lo, v7, v3
	v_add_co_ci_u32_e64 v4, null, v8, v4, vcc_lo
	global_load_dwordx2 v[3:4], v[3:4], off glc dlc
	s_waitcnt vmcnt(0)
	global_atomic_cmpswap_x2 v[8:9], v2, v[3:6], s[6:7] offset:24 glc
	s_waitcnt vmcnt(0)
	buffer_gl1_inv
	buffer_gl0_inv
	v_cmpx_ne_u64_e64 v[8:9], v[5:6]
	s_cbranch_execz .LBB6_170
; %bb.167:
	s_mov_b32 s10, 0
	.p2align	6
.LBB6_168:                              ; =>This Inner Loop Header: Depth=1
	s_sleep 1
	s_clause 0x1
	global_load_dwordx2 v[3:4], v2, s[6:7] offset:40
	global_load_dwordx2 v[10:11], v2, s[6:7]
	v_mov_b32_e32 v5, v8
	v_mov_b32_e32 v6, v9
	s_waitcnt vmcnt(1)
	v_and_b32_e32 v3, v3, v5
	v_and_b32_e32 v4, v4, v6
	s_waitcnt vmcnt(0)
	v_mad_u64_u32 v[7:8], null, v3, 24, v[10:11]
	v_mov_b32_e32 v3, v8
	v_mad_u64_u32 v[3:4], null, v4, 24, v[3:4]
	v_mov_b32_e32 v8, v3
	global_load_dwordx2 v[3:4], v[7:8], off glc dlc
	s_waitcnt vmcnt(0)
	global_atomic_cmpswap_x2 v[8:9], v2, v[3:6], s[6:7] offset:24 glc
	s_waitcnt vmcnt(0)
	buffer_gl1_inv
	buffer_gl0_inv
	v_cmp_eq_u64_e32 vcc_lo, v[8:9], v[5:6]
	s_or_b32 s10, vcc_lo, s10
	s_andn2_b32 exec_lo, exec_lo, s10
	s_cbranch_execnz .LBB6_168
; %bb.169:
	s_or_b32 exec_lo, exec_lo, s10
.LBB6_170:
	s_or_b32 exec_lo, exec_lo, s9
.LBB6_171:
	s_or_b32 exec_lo, exec_lo, s8
	v_mov_b32_e32 v3, 0
	v_readfirstlane_b32 s9, v9
	v_readfirstlane_b32 s8, v8
	s_mov_b32 s13, exec_lo
	s_clause 0x1
	global_load_dwordx2 v[10:11], v3, s[6:7] offset:40
	global_load_dwordx4 v[4:7], v3, s[6:7]
	s_waitcnt vmcnt(1)
	v_readfirstlane_b32 s10, v10
	v_readfirstlane_b32 s11, v11
	s_and_b64 s[10:11], s[10:11], s[8:9]
	s_mul_i32 s14, s11, 24
	s_mul_hi_u32 s15, s10, 24
	s_mul_i32 s16, s10, 24
	s_add_i32 s15, s15, s14
	s_waitcnt vmcnt(0)
	v_add_co_u32 v8, vcc_lo, v4, s16
	v_add_co_ci_u32_e64 v9, null, s15, v5, vcc_lo
	s_and_saveexec_b32 s14, s1
	s_cbranch_execz .LBB6_173
; %bb.172:
	v_mov_b32_e32 v2, s13
	v_mov_b32_e32 v11, v3
	;; [unrolled: 1-line block ×5, first 2 shown]
	global_store_dwordx4 v[8:9], v[10:13], off offset:8
.LBB6_173:
	s_or_b32 exec_lo, exec_lo, s14
	s_lshl_b64 s[10:11], s[10:11], 12
	s_mov_b32 s16, 0
	v_add_co_u32 v6, vcc_lo, v6, s10
	v_add_co_ci_u32_e64 v7, null, s11, v7, vcc_lo
	s_mov_b32 s17, s16
	v_readfirstlane_b32 s10, v6
	v_add_co_u32 v6, vcc_lo, v6, v30
	s_mov_b32 s18, s16
	s_mov_b32 s19, s16
	v_cndmask_b32_e64 v2, -1, v32, s0
	v_and_or_b32 v0, 0xffffff1f, v0, 32
	v_readfirstlane_b32 s11, v7
	v_mov_b32_e32 v10, s16
	v_add_co_ci_u32_e64 v7, null, 0, v7, vcc_lo
	v_mov_b32_e32 v11, s17
	v_mov_b32_e32 v12, s18
	;; [unrolled: 1-line block ×3, first 2 shown]
	global_store_dwordx4 v30, v[0:3], s[10:11]
	global_store_dwordx4 v30, v[10:13], s[10:11] offset:16
	global_store_dwordx4 v30, v[10:13], s[10:11] offset:32
	;; [unrolled: 1-line block ×3, first 2 shown]
	s_and_saveexec_b32 s0, s1
	s_cbranch_execz .LBB6_181
; %bb.174:
	v_mov_b32_e32 v10, 0
	v_mov_b32_e32 v11, s8
	v_mov_b32_e32 v12, s9
	s_clause 0x1
	global_load_dwordx2 v[13:14], v10, s[6:7] offset:32 glc dlc
	global_load_dwordx2 v[0:1], v10, s[6:7] offset:40
	s_waitcnt vmcnt(0)
	v_readfirstlane_b32 s10, v0
	v_readfirstlane_b32 s11, v1
	s_and_b64 s[10:11], s[10:11], s[8:9]
	s_mul_i32 s11, s11, 24
	s_mul_hi_u32 s13, s10, 24
	s_mul_i32 s10, s10, 24
	s_add_i32 s13, s13, s11
	v_add_co_u32 v4, vcc_lo, v4, s10
	v_add_co_ci_u32_e64 v5, null, s13, v5, vcc_lo
	s_mov_b32 s10, exec_lo
	global_store_dwordx2 v[4:5], v[13:14], off
	s_waitcnt_vscnt null, 0x0
	global_atomic_cmpswap_x2 v[2:3], v10, v[11:14], s[6:7] offset:32 glc
	s_waitcnt vmcnt(0)
	v_cmpx_ne_u64_e64 v[2:3], v[13:14]
	s_cbranch_execz .LBB6_177
; %bb.175:
	s_mov_b32 s11, 0
.LBB6_176:                              ; =>This Inner Loop Header: Depth=1
	v_mov_b32_e32 v0, s8
	v_mov_b32_e32 v1, s9
	s_sleep 1
	global_store_dwordx2 v[4:5], v[2:3], off
	s_waitcnt_vscnt null, 0x0
	global_atomic_cmpswap_x2 v[0:1], v10, v[0:3], s[6:7] offset:32 glc
	s_waitcnt vmcnt(0)
	v_cmp_eq_u64_e32 vcc_lo, v[0:1], v[2:3]
	v_mov_b32_e32 v3, v1
	v_mov_b32_e32 v2, v0
	s_or_b32 s11, vcc_lo, s11
	s_andn2_b32 exec_lo, exec_lo, s11
	s_cbranch_execnz .LBB6_176
.LBB6_177:
	s_or_b32 exec_lo, exec_lo, s10
	v_mov_b32_e32 v3, 0
	s_mov_b32 s11, exec_lo
	s_mov_b32 s10, exec_lo
	v_mbcnt_lo_u32_b32 v2, s11, 0
	global_load_dwordx2 v[0:1], v3, s[6:7] offset:16
	v_cmpx_eq_u32_e32 0, v2
	s_cbranch_execz .LBB6_179
; %bb.178:
	s_bcnt1_i32_b32 s11, s11
	v_mov_b32_e32 v2, s11
	s_waitcnt vmcnt(0)
	global_atomic_add_x2 v[0:1], v[2:3], off offset:8
.LBB6_179:
	s_or_b32 exec_lo, exec_lo, s10
	s_waitcnt vmcnt(0)
	global_load_dwordx2 v[2:3], v[0:1], off offset:16
	s_waitcnt vmcnt(0)
	v_cmp_eq_u64_e32 vcc_lo, 0, v[2:3]
	s_cbranch_vccnz .LBB6_181
; %bb.180:
	global_load_dword v0, v[0:1], off offset:24
	v_mov_b32_e32 v1, 0
	s_waitcnt vmcnt(0)
	v_readfirstlane_b32 s10, v0
	s_waitcnt_vscnt null, 0x0
	global_store_dwordx2 v[2:3], v[0:1], off
	s_and_b32 m0, s10, 0x7fffff
	s_sendmsg sendmsg(MSG_INTERRUPT)
.LBB6_181:
	s_or_b32 exec_lo, exec_lo, s0
	s_branch .LBB6_185
	.p2align	6
.LBB6_182:                              ;   in Loop: Header=BB6_185 Depth=1
	s_or_b32 exec_lo, exec_lo, s0
	v_readfirstlane_b32 s0, v0
	s_cmp_eq_u32 s0, 0
	s_cbranch_scc1 .LBB6_184
; %bb.183:                              ;   in Loop: Header=BB6_185 Depth=1
	s_sleep 1
	s_cbranch_execnz .LBB6_185
	s_branch .LBB6_187
	.p2align	6
.LBB6_184:
	s_branch .LBB6_187
.LBB6_185:                              ; =>This Inner Loop Header: Depth=1
	v_mov_b32_e32 v0, 1
	s_and_saveexec_b32 s0, s1
	s_cbranch_execz .LBB6_182
; %bb.186:                              ;   in Loop: Header=BB6_185 Depth=1
	global_load_dword v0, v[8:9], off offset:20 glc dlc
	s_waitcnt vmcnt(0)
	buffer_gl1_inv
	buffer_gl0_inv
	v_and_b32_e32 v0, 1, v0
	s_branch .LBB6_182
.LBB6_187:
	global_load_dwordx2 v[0:1], v[6:7], off
	s_and_saveexec_b32 s10, s1
	s_cbranch_execz .LBB6_191
; %bb.188:
	v_mov_b32_e32 v8, 0
	s_clause 0x2
	global_load_dwordx2 v[2:3], v8, s[6:7] offset:40
	global_load_dwordx2 v[11:12], v8, s[6:7] offset:24 glc dlc
	global_load_dwordx2 v[4:5], v8, s[6:7]
	s_waitcnt vmcnt(2)
	v_readfirstlane_b32 s14, v2
	v_readfirstlane_b32 s15, v3
	s_add_u32 s11, s14, 1
	s_addc_u32 s13, s15, 0
	s_add_u32 s0, s11, s8
	s_addc_u32 s1, s13, s9
	s_cmp_eq_u64 s[0:1], 0
	s_cselect_b32 s1, s13, s1
	s_cselect_b32 s0, s11, s0
	v_mov_b32_e32 v10, s1
	s_and_b64 s[8:9], s[0:1], s[14:15]
	v_mov_b32_e32 v9, s0
	s_mul_i32 s9, s9, 24
	s_mul_hi_u32 s11, s8, 24
	s_mul_i32 s8, s8, 24
	s_add_i32 s11, s11, s9
	s_waitcnt vmcnt(0)
	v_add_co_u32 v6, vcc_lo, v4, s8
	v_add_co_ci_u32_e64 v7, null, s11, v5, vcc_lo
	global_store_dwordx2 v[6:7], v[11:12], off
	s_waitcnt_vscnt null, 0x0
	global_atomic_cmpswap_x2 v[4:5], v8, v[9:12], s[6:7] offset:24 glc
	s_waitcnt vmcnt(0)
	v_cmp_ne_u64_e32 vcc_lo, v[4:5], v[11:12]
	s_and_b32 exec_lo, exec_lo, vcc_lo
	s_cbranch_execz .LBB6_191
; %bb.189:
	s_mov_b32 s8, 0
.LBB6_190:                              ; =>This Inner Loop Header: Depth=1
	v_mov_b32_e32 v2, s0
	v_mov_b32_e32 v3, s1
	s_sleep 1
	global_store_dwordx2 v[6:7], v[4:5], off
	s_waitcnt_vscnt null, 0x0
	global_atomic_cmpswap_x2 v[2:3], v8, v[2:5], s[6:7] offset:24 glc
	s_waitcnt vmcnt(0)
	v_cmp_eq_u64_e32 vcc_lo, v[2:3], v[4:5]
	v_mov_b32_e32 v5, v3
	v_mov_b32_e32 v4, v2
	s_or_b32 s8, vcc_lo, s8
	s_andn2_b32 exec_lo, exec_lo, s8
	s_cbranch_execnz .LBB6_190
.LBB6_191:
	s_or_b32 exec_lo, exec_lo, s10
	v_readfirstlane_b32 s0, v31
	v_mov_b32_e32 v8, 0
	v_mov_b32_e32 v9, 0
	v_cmp_eq_u32_e64 s0, s0, v31
	s_and_saveexec_b32 s1, s0
	s_cbranch_execz .LBB6_197
; %bb.192:
	v_mov_b32_e32 v2, 0
	s_mov_b32 s8, exec_lo
	global_load_dwordx2 v[5:6], v2, s[6:7] offset:24 glc dlc
	s_waitcnt vmcnt(0)
	buffer_gl1_inv
	buffer_gl0_inv
	s_clause 0x1
	global_load_dwordx2 v[3:4], v2, s[6:7] offset:40
	global_load_dwordx2 v[7:8], v2, s[6:7]
	s_waitcnt vmcnt(1)
	v_and_b32_e32 v4, v4, v6
	v_and_b32_e32 v3, v3, v5
	v_mul_lo_u32 v4, v4, 24
	v_mul_hi_u32 v9, v3, 24
	v_mul_lo_u32 v3, v3, 24
	v_add_nc_u32_e32 v4, v9, v4
	s_waitcnt vmcnt(0)
	v_add_co_u32 v3, vcc_lo, v7, v3
	v_add_co_ci_u32_e64 v4, null, v8, v4, vcc_lo
	global_load_dwordx2 v[3:4], v[3:4], off glc dlc
	s_waitcnt vmcnt(0)
	global_atomic_cmpswap_x2 v[8:9], v2, v[3:6], s[6:7] offset:24 glc
	s_waitcnt vmcnt(0)
	buffer_gl1_inv
	buffer_gl0_inv
	v_cmpx_ne_u64_e64 v[8:9], v[5:6]
	s_cbranch_execz .LBB6_196
; %bb.193:
	s_mov_b32 s9, 0
	.p2align	6
.LBB6_194:                              ; =>This Inner Loop Header: Depth=1
	s_sleep 1
	s_clause 0x1
	global_load_dwordx2 v[3:4], v2, s[6:7] offset:40
	global_load_dwordx2 v[10:11], v2, s[6:7]
	v_mov_b32_e32 v5, v8
	v_mov_b32_e32 v6, v9
	s_waitcnt vmcnt(1)
	v_and_b32_e32 v3, v3, v5
	v_and_b32_e32 v4, v4, v6
	s_waitcnt vmcnt(0)
	v_mad_u64_u32 v[7:8], null, v3, 24, v[10:11]
	v_mov_b32_e32 v3, v8
	v_mad_u64_u32 v[3:4], null, v4, 24, v[3:4]
	v_mov_b32_e32 v8, v3
	global_load_dwordx2 v[3:4], v[7:8], off glc dlc
	s_waitcnt vmcnt(0)
	global_atomic_cmpswap_x2 v[8:9], v2, v[3:6], s[6:7] offset:24 glc
	s_waitcnt vmcnt(0)
	buffer_gl1_inv
	buffer_gl0_inv
	v_cmp_eq_u64_e32 vcc_lo, v[8:9], v[5:6]
	s_or_b32 s9, vcc_lo, s9
	s_andn2_b32 exec_lo, exec_lo, s9
	s_cbranch_execnz .LBB6_194
; %bb.195:
	s_or_b32 exec_lo, exec_lo, s9
.LBB6_196:
	s_or_b32 exec_lo, exec_lo, s8
.LBB6_197:
	s_or_b32 exec_lo, exec_lo, s1
	v_mov_b32_e32 v3, 0
	v_readfirstlane_b32 s9, v9
	v_readfirstlane_b32 s8, v8
	s_mov_b32 s1, exec_lo
	s_clause 0x1
	global_load_dwordx2 v[10:11], v3, s[6:7] offset:40
	global_load_dwordx4 v[4:7], v3, s[6:7]
	s_waitcnt vmcnt(1)
	v_readfirstlane_b32 s10, v10
	v_readfirstlane_b32 s11, v11
	s_and_b64 s[10:11], s[10:11], s[8:9]
	s_mul_i32 s13, s11, 24
	s_mul_hi_u32 s14, s10, 24
	s_mul_i32 s15, s10, 24
	s_add_i32 s14, s14, s13
	s_waitcnt vmcnt(0)
	v_add_co_u32 v8, vcc_lo, v4, s15
	v_add_co_ci_u32_e64 v9, null, s14, v5, vcc_lo
	s_and_saveexec_b32 s13, s0
	s_cbranch_execz .LBB6_199
; %bb.198:
	v_mov_b32_e32 v2, s1
	v_mov_b32_e32 v11, v3
	v_mov_b32_e32 v12, 2
	v_mov_b32_e32 v13, 1
	v_mov_b32_e32 v10, v2
	global_store_dwordx4 v[8:9], v[10:13], off offset:8
.LBB6_199:
	s_or_b32 exec_lo, exec_lo, s13
	s_lshl_b64 s[10:11], s[10:11], 12
	s_mul_i32 s12, s12, s20
	v_add_co_u32 v6, vcc_lo, v6, s10
	v_add_co_ci_u32_e64 v7, null, s11, v7, vcc_lo
	s_lshr_b32 s1, s12, 1
	s_mov_b32 s12, 0
	v_and_or_b32 v0, 0xffffff1d, v0, 34
	s_mov_b32 s13, s12
	s_mov_b32 s14, s12
	;; [unrolled: 1-line block ×3, first 2 shown]
	v_mov_b32_e32 v2, s1
	v_readfirstlane_b32 s10, v6
	v_readfirstlane_b32 s11, v7
	v_mov_b32_e32 v10, s12
	v_mov_b32_e32 v11, s13
	;; [unrolled: 1-line block ×4, first 2 shown]
	global_store_dwordx4 v30, v[0:3], s[10:11]
	global_store_dwordx4 v30, v[10:13], s[10:11] offset:16
	global_store_dwordx4 v30, v[10:13], s[10:11] offset:32
	;; [unrolled: 1-line block ×3, first 2 shown]
	s_and_saveexec_b32 s1, s0
	s_cbranch_execz .LBB6_207
; %bb.200:
	v_mov_b32_e32 v6, 0
	v_mov_b32_e32 v10, s8
	;; [unrolled: 1-line block ×3, first 2 shown]
	s_clause 0x1
	global_load_dwordx2 v[12:13], v6, s[6:7] offset:32 glc dlc
	global_load_dwordx2 v[0:1], v6, s[6:7] offset:40
	s_waitcnt vmcnt(0)
	v_readfirstlane_b32 s10, v0
	v_readfirstlane_b32 s11, v1
	s_and_b64 s[10:11], s[10:11], s[8:9]
	s_mul_i32 s11, s11, 24
	s_mul_hi_u32 s12, s10, 24
	s_mul_i32 s10, s10, 24
	s_add_i32 s12, s12, s11
	v_add_co_u32 v4, vcc_lo, v4, s10
	v_add_co_ci_u32_e64 v5, null, s12, v5, vcc_lo
	s_mov_b32 s10, exec_lo
	global_store_dwordx2 v[4:5], v[12:13], off
	s_waitcnt_vscnt null, 0x0
	global_atomic_cmpswap_x2 v[2:3], v6, v[10:13], s[6:7] offset:32 glc
	s_waitcnt vmcnt(0)
	v_cmpx_ne_u64_e64 v[2:3], v[12:13]
	s_cbranch_execz .LBB6_203
; %bb.201:
	s_mov_b32 s11, 0
.LBB6_202:                              ; =>This Inner Loop Header: Depth=1
	v_mov_b32_e32 v0, s8
	v_mov_b32_e32 v1, s9
	s_sleep 1
	global_store_dwordx2 v[4:5], v[2:3], off
	s_waitcnt_vscnt null, 0x0
	global_atomic_cmpswap_x2 v[0:1], v6, v[0:3], s[6:7] offset:32 glc
	s_waitcnt vmcnt(0)
	v_cmp_eq_u64_e32 vcc_lo, v[0:1], v[2:3]
	v_mov_b32_e32 v3, v1
	v_mov_b32_e32 v2, v0
	s_or_b32 s11, vcc_lo, s11
	s_andn2_b32 exec_lo, exec_lo, s11
	s_cbranch_execnz .LBB6_202
.LBB6_203:
	s_or_b32 exec_lo, exec_lo, s10
	v_mov_b32_e32 v3, 0
	s_mov_b32 s11, exec_lo
	s_mov_b32 s10, exec_lo
	v_mbcnt_lo_u32_b32 v2, s11, 0
	global_load_dwordx2 v[0:1], v3, s[6:7] offset:16
	v_cmpx_eq_u32_e32 0, v2
	s_cbranch_execz .LBB6_205
; %bb.204:
	s_bcnt1_i32_b32 s11, s11
	v_mov_b32_e32 v2, s11
	s_waitcnt vmcnt(0)
	global_atomic_add_x2 v[0:1], v[2:3], off offset:8
.LBB6_205:
	s_or_b32 exec_lo, exec_lo, s10
	s_waitcnt vmcnt(0)
	global_load_dwordx2 v[2:3], v[0:1], off offset:16
	s_waitcnt vmcnt(0)
	v_cmp_eq_u64_e32 vcc_lo, 0, v[2:3]
	s_cbranch_vccnz .LBB6_207
; %bb.206:
	global_load_dword v0, v[0:1], off offset:24
	v_mov_b32_e32 v1, 0
	s_waitcnt vmcnt(0)
	v_readfirstlane_b32 s10, v0
	s_waitcnt_vscnt null, 0x0
	global_store_dwordx2 v[2:3], v[0:1], off
	s_and_b32 m0, s10, 0x7fffff
	s_sendmsg sendmsg(MSG_INTERRUPT)
.LBB6_207:
	s_or_b32 exec_lo, exec_lo, s1
	s_branch .LBB6_211
	.p2align	6
.LBB6_208:                              ;   in Loop: Header=BB6_211 Depth=1
	s_or_b32 exec_lo, exec_lo, s1
	v_readfirstlane_b32 s1, v0
	s_cmp_eq_u32 s1, 0
	s_cbranch_scc1 .LBB6_210
; %bb.209:                              ;   in Loop: Header=BB6_211 Depth=1
	s_sleep 1
	s_cbranch_execnz .LBB6_211
	s_branch .LBB6_213
	.p2align	6
.LBB6_210:
	s_branch .LBB6_213
.LBB6_211:                              ; =>This Inner Loop Header: Depth=1
	v_mov_b32_e32 v0, 1
	s_and_saveexec_b32 s1, s0
	s_cbranch_execz .LBB6_208
; %bb.212:                              ;   in Loop: Header=BB6_211 Depth=1
	global_load_dword v0, v[8:9], off offset:20 glc dlc
	s_waitcnt vmcnt(0)
	buffer_gl1_inv
	buffer_gl0_inv
	v_and_b32_e32 v0, 1, v0
	s_branch .LBB6_208
.LBB6_213:
	s_and_saveexec_b32 s10, s0
	s_cbranch_execz .LBB6_217
; %bb.214:
	v_mov_b32_e32 v6, 0
	s_clause 0x2
	global_load_dwordx2 v[0:1], v6, s[6:7] offset:40
	global_load_dwordx2 v[9:10], v6, s[6:7] offset:24 glc dlc
	global_load_dwordx2 v[2:3], v6, s[6:7]
	s_waitcnt vmcnt(2)
	v_readfirstlane_b32 s12, v0
	v_readfirstlane_b32 s13, v1
	s_add_u32 s11, s12, 1
	s_addc_u32 s14, s13, 0
	s_add_u32 s0, s11, s8
	s_addc_u32 s1, s14, s9
	s_cmp_eq_u64 s[0:1], 0
	s_cselect_b32 s1, s14, s1
	s_cselect_b32 s0, s11, s0
	v_mov_b32_e32 v8, s1
	s_and_b64 s[8:9], s[0:1], s[12:13]
	v_mov_b32_e32 v7, s0
	s_mul_i32 s9, s9, 24
	s_mul_hi_u32 s11, s8, 24
	s_mul_i32 s8, s8, 24
	s_add_i32 s11, s11, s9
	s_waitcnt vmcnt(0)
	v_add_co_u32 v4, vcc_lo, v2, s8
	v_add_co_ci_u32_e64 v5, null, s11, v3, vcc_lo
	global_store_dwordx2 v[4:5], v[9:10], off
	s_waitcnt_vscnt null, 0x0
	global_atomic_cmpswap_x2 v[2:3], v6, v[7:10], s[6:7] offset:24 glc
	s_waitcnt vmcnt(0)
	v_cmp_ne_u64_e32 vcc_lo, v[2:3], v[9:10]
	s_and_b32 exec_lo, exec_lo, vcc_lo
	s_cbranch_execz .LBB6_217
; %bb.215:
	s_mov_b32 s8, 0
.LBB6_216:                              ; =>This Inner Loop Header: Depth=1
	v_mov_b32_e32 v0, s0
	v_mov_b32_e32 v1, s1
	s_sleep 1
	global_store_dwordx2 v[4:5], v[2:3], off
	s_waitcnt_vscnt null, 0x0
	global_atomic_cmpswap_x2 v[0:1], v6, v[0:3], s[6:7] offset:24 glc
	s_waitcnt vmcnt(0)
	v_cmp_eq_u64_e32 vcc_lo, v[0:1], v[2:3]
	v_mov_b32_e32 v3, v1
	v_mov_b32_e32 v2, v0
	s_or_b32 s8, vcc_lo, s8
	s_andn2_b32 exec_lo, exec_lo, s8
	s_cbranch_execnz .LBB6_216
.LBB6_217:
	s_or_b32 exec_lo, exec_lo, s10
	v_readfirstlane_b32 s0, v31
	v_mov_b32_e32 v6, 0
	v_mov_b32_e32 v7, 0
	v_cmp_eq_u32_e64 s0, s0, v31
	s_and_saveexec_b32 s1, s0
	s_cbranch_execz .LBB6_223
; %bb.218:
	v_mov_b32_e32 v0, 0
	s_mov_b32 s8, exec_lo
	global_load_dwordx2 v[3:4], v0, s[6:7] offset:24 glc dlc
	s_waitcnt vmcnt(0)
	buffer_gl1_inv
	buffer_gl0_inv
	s_clause 0x1
	global_load_dwordx2 v[1:2], v0, s[6:7] offset:40
	global_load_dwordx2 v[5:6], v0, s[6:7]
	s_waitcnt vmcnt(1)
	v_and_b32_e32 v2, v2, v4
	v_and_b32_e32 v1, v1, v3
	v_mul_lo_u32 v2, v2, 24
	v_mul_hi_u32 v7, v1, 24
	v_mul_lo_u32 v1, v1, 24
	v_add_nc_u32_e32 v2, v7, v2
	s_waitcnt vmcnt(0)
	v_add_co_u32 v1, vcc_lo, v5, v1
	v_add_co_ci_u32_e64 v2, null, v6, v2, vcc_lo
	global_load_dwordx2 v[1:2], v[1:2], off glc dlc
	s_waitcnt vmcnt(0)
	global_atomic_cmpswap_x2 v[6:7], v0, v[1:4], s[6:7] offset:24 glc
	s_waitcnt vmcnt(0)
	buffer_gl1_inv
	buffer_gl0_inv
	v_cmpx_ne_u64_e64 v[6:7], v[3:4]
	s_cbranch_execz .LBB6_222
; %bb.219:
	s_mov_b32 s9, 0
	.p2align	6
.LBB6_220:                              ; =>This Inner Loop Header: Depth=1
	s_sleep 1
	s_clause 0x1
	global_load_dwordx2 v[1:2], v0, s[6:7] offset:40
	global_load_dwordx2 v[8:9], v0, s[6:7]
	v_mov_b32_e32 v3, v6
	v_mov_b32_e32 v4, v7
	s_waitcnt vmcnt(1)
	v_and_b32_e32 v1, v1, v3
	v_and_b32_e32 v2, v2, v4
	s_waitcnt vmcnt(0)
	v_mad_u64_u32 v[5:6], null, v1, 24, v[8:9]
	v_mov_b32_e32 v1, v6
	v_mad_u64_u32 v[1:2], null, v2, 24, v[1:2]
	v_mov_b32_e32 v6, v1
	global_load_dwordx2 v[1:2], v[5:6], off glc dlc
	s_waitcnt vmcnt(0)
	global_atomic_cmpswap_x2 v[6:7], v0, v[1:4], s[6:7] offset:24 glc
	s_waitcnt vmcnt(0)
	buffer_gl1_inv
	buffer_gl0_inv
	v_cmp_eq_u64_e32 vcc_lo, v[6:7], v[3:4]
	s_or_b32 s9, vcc_lo, s9
	s_andn2_b32 exec_lo, exec_lo, s9
	s_cbranch_execnz .LBB6_220
; %bb.221:
	s_or_b32 exec_lo, exec_lo, s9
.LBB6_222:
	s_or_b32 exec_lo, exec_lo, s8
.LBB6_223:
	s_or_b32 exec_lo, exec_lo, s1
	v_mov_b32_e32 v5, 0
	v_readfirstlane_b32 s9, v7
	v_readfirstlane_b32 s8, v6
	s_mov_b32 s1, exec_lo
	s_clause 0x1
	global_load_dwordx2 v[8:9], v5, s[6:7] offset:40
	global_load_dwordx4 v[0:3], v5, s[6:7]
	s_waitcnt vmcnt(1)
	v_readfirstlane_b32 s10, v8
	v_readfirstlane_b32 s11, v9
	s_and_b64 s[10:11], s[10:11], s[8:9]
	s_mul_i32 s12, s11, 24
	s_mul_hi_u32 s13, s10, 24
	s_mul_i32 s14, s10, 24
	s_add_i32 s13, s13, s12
	s_waitcnt vmcnt(0)
	v_add_co_u32 v8, vcc_lo, v0, s14
	v_add_co_ci_u32_e64 v9, null, s13, v1, vcc_lo
	s_and_saveexec_b32 s12, s0
	s_cbranch_execz .LBB6_225
; %bb.224:
	v_mov_b32_e32 v4, s1
	v_mov_b32_e32 v6, 2
	;; [unrolled: 1-line block ×3, first 2 shown]
	global_store_dwordx4 v[8:9], v[4:7], off offset:8
.LBB6_225:
	s_or_b32 exec_lo, exec_lo, s12
	s_lshl_b64 s[10:11], s[10:11], 12
	s_mov_b32 s12, 0
	v_add_co_u32 v2, vcc_lo, v2, s10
	v_add_co_ci_u32_e64 v3, null, s11, v3, vcc_lo
	s_mov_b32 s13, s12
	v_add_co_u32 v10, vcc_lo, v2, v30
	s_mov_b32 s14, s12
	s_mov_b32 s15, s12
	v_mov_b32_e32 v4, 33
	v_mov_b32_e32 v6, v5
	;; [unrolled: 1-line block ×3, first 2 shown]
	v_readfirstlane_b32 s10, v2
	v_readfirstlane_b32 s11, v3
	v_mov_b32_e32 v12, s12
	v_add_co_ci_u32_e64 v11, null, 0, v3, vcc_lo
	v_mov_b32_e32 v13, s13
	v_mov_b32_e32 v14, s14
	;; [unrolled: 1-line block ×3, first 2 shown]
	global_store_dwordx4 v30, v[4:7], s[10:11]
	global_store_dwordx4 v30, v[12:15], s[10:11] offset:16
	global_store_dwordx4 v30, v[12:15], s[10:11] offset:32
	;; [unrolled: 1-line block ×3, first 2 shown]
	s_and_saveexec_b32 s1, s0
	s_cbranch_execz .LBB6_233
; %bb.226:
	v_mov_b32_e32 v6, 0
	v_mov_b32_e32 v12, s8
	v_mov_b32_e32 v13, s9
	s_clause 0x1
	global_load_dwordx2 v[14:15], v6, s[6:7] offset:32 glc dlc
	global_load_dwordx2 v[2:3], v6, s[6:7] offset:40
	s_waitcnt vmcnt(0)
	v_readfirstlane_b32 s10, v2
	v_readfirstlane_b32 s11, v3
	s_and_b64 s[10:11], s[10:11], s[8:9]
	s_mul_i32 s11, s11, 24
	s_mul_hi_u32 s12, s10, 24
	s_mul_i32 s10, s10, 24
	s_add_i32 s12, s12, s11
	v_add_co_u32 v4, vcc_lo, v0, s10
	v_add_co_ci_u32_e64 v5, null, s12, v1, vcc_lo
	s_mov_b32 s10, exec_lo
	global_store_dwordx2 v[4:5], v[14:15], off
	s_waitcnt_vscnt null, 0x0
	global_atomic_cmpswap_x2 v[2:3], v6, v[12:15], s[6:7] offset:32 glc
	s_waitcnt vmcnt(0)
	v_cmpx_ne_u64_e64 v[2:3], v[14:15]
	s_cbranch_execz .LBB6_229
; %bb.227:
	s_mov_b32 s11, 0
.LBB6_228:                              ; =>This Inner Loop Header: Depth=1
	v_mov_b32_e32 v0, s8
	v_mov_b32_e32 v1, s9
	s_sleep 1
	global_store_dwordx2 v[4:5], v[2:3], off
	s_waitcnt_vscnt null, 0x0
	global_atomic_cmpswap_x2 v[0:1], v6, v[0:3], s[6:7] offset:32 glc
	s_waitcnt vmcnt(0)
	v_cmp_eq_u64_e32 vcc_lo, v[0:1], v[2:3]
	v_mov_b32_e32 v3, v1
	v_mov_b32_e32 v2, v0
	s_or_b32 s11, vcc_lo, s11
	s_andn2_b32 exec_lo, exec_lo, s11
	s_cbranch_execnz .LBB6_228
.LBB6_229:
	s_or_b32 exec_lo, exec_lo, s10
	v_mov_b32_e32 v3, 0
	s_mov_b32 s11, exec_lo
	s_mov_b32 s10, exec_lo
	v_mbcnt_lo_u32_b32 v2, s11, 0
	global_load_dwordx2 v[0:1], v3, s[6:7] offset:16
	v_cmpx_eq_u32_e32 0, v2
	s_cbranch_execz .LBB6_231
; %bb.230:
	s_bcnt1_i32_b32 s11, s11
	v_mov_b32_e32 v2, s11
	s_waitcnt vmcnt(0)
	global_atomic_add_x2 v[0:1], v[2:3], off offset:8
.LBB6_231:
	s_or_b32 exec_lo, exec_lo, s10
	s_waitcnt vmcnt(0)
	global_load_dwordx2 v[2:3], v[0:1], off offset:16
	s_waitcnt vmcnt(0)
	v_cmp_eq_u64_e32 vcc_lo, 0, v[2:3]
	s_cbranch_vccnz .LBB6_233
; %bb.232:
	global_load_dword v0, v[0:1], off offset:24
	v_mov_b32_e32 v1, 0
	s_waitcnt vmcnt(0)
	v_readfirstlane_b32 s10, v0
	s_waitcnt_vscnt null, 0x0
	global_store_dwordx2 v[2:3], v[0:1], off
	s_and_b32 m0, s10, 0x7fffff
	s_sendmsg sendmsg(MSG_INTERRUPT)
.LBB6_233:
	s_or_b32 exec_lo, exec_lo, s1
	s_branch .LBB6_237
	.p2align	6
.LBB6_234:                              ;   in Loop: Header=BB6_237 Depth=1
	s_or_b32 exec_lo, exec_lo, s1
	v_readfirstlane_b32 s1, v0
	s_cmp_eq_u32 s1, 0
	s_cbranch_scc1 .LBB6_236
; %bb.235:                              ;   in Loop: Header=BB6_237 Depth=1
	s_sleep 1
	s_cbranch_execnz .LBB6_237
	s_branch .LBB6_239
	.p2align	6
.LBB6_236:
	s_branch .LBB6_239
.LBB6_237:                              ; =>This Inner Loop Header: Depth=1
	v_mov_b32_e32 v0, 1
	s_and_saveexec_b32 s1, s0
	s_cbranch_execz .LBB6_234
; %bb.238:                              ;   in Loop: Header=BB6_237 Depth=1
	global_load_dword v0, v[8:9], off offset:20 glc dlc
	s_waitcnt vmcnt(0)
	buffer_gl1_inv
	buffer_gl0_inv
	v_and_b32_e32 v0, 1, v0
	s_branch .LBB6_234
.LBB6_239:
	global_load_dwordx2 v[0:1], v[10:11], off
	s_and_saveexec_b32 s10, s0
	s_cbranch_execz .LBB6_243
; %bb.240:
	v_mov_b32_e32 v8, 0
	s_clause 0x2
	global_load_dwordx2 v[2:3], v8, s[6:7] offset:40
	global_load_dwordx2 v[11:12], v8, s[6:7] offset:24 glc dlc
	global_load_dwordx2 v[4:5], v8, s[6:7]
	s_waitcnt vmcnt(2)
	v_readfirstlane_b32 s12, v2
	v_readfirstlane_b32 s13, v3
	s_add_u32 s11, s12, 1
	s_addc_u32 s14, s13, 0
	s_add_u32 s0, s11, s8
	s_addc_u32 s1, s14, s9
	s_cmp_eq_u64 s[0:1], 0
	s_cselect_b32 s1, s14, s1
	s_cselect_b32 s0, s11, s0
	v_mov_b32_e32 v10, s1
	s_and_b64 s[8:9], s[0:1], s[12:13]
	v_mov_b32_e32 v9, s0
	s_mul_i32 s9, s9, 24
	s_mul_hi_u32 s11, s8, 24
	s_mul_i32 s8, s8, 24
	s_add_i32 s11, s11, s9
	s_waitcnt vmcnt(0)
	v_add_co_u32 v6, vcc_lo, v4, s8
	v_add_co_ci_u32_e64 v7, null, s11, v5, vcc_lo
	global_store_dwordx2 v[6:7], v[11:12], off
	s_waitcnt_vscnt null, 0x0
	global_atomic_cmpswap_x2 v[4:5], v8, v[9:12], s[6:7] offset:24 glc
	s_waitcnt vmcnt(0)
	v_cmp_ne_u64_e32 vcc_lo, v[4:5], v[11:12]
	s_and_b32 exec_lo, exec_lo, vcc_lo
	s_cbranch_execz .LBB6_243
; %bb.241:
	s_mov_b32 s8, 0
.LBB6_242:                              ; =>This Inner Loop Header: Depth=1
	v_mov_b32_e32 v2, s0
	v_mov_b32_e32 v3, s1
	s_sleep 1
	global_store_dwordx2 v[6:7], v[4:5], off
	s_waitcnt_vscnt null, 0x0
	global_atomic_cmpswap_x2 v[2:3], v8, v[2:5], s[6:7] offset:24 glc
	s_waitcnt vmcnt(0)
	v_cmp_eq_u64_e32 vcc_lo, v[2:3], v[4:5]
	v_mov_b32_e32 v5, v3
	v_mov_b32_e32 v4, v2
	s_or_b32 s8, vcc_lo, s8
	s_andn2_b32 exec_lo, exec_lo, s8
	s_cbranch_execnz .LBB6_242
.LBB6_243:
	s_or_b32 exec_lo, exec_lo, s10
	s_getpc_b64 s[8:9]
	s_add_u32 s8, s8, .str.1@rel32@lo+4
	s_addc_u32 s9, s9, .str.1@rel32@hi+12
	s_cmp_lg_u64 s[8:9], 0
	s_cbranch_scc0 .LBB6_322
; %bb.244:
	s_waitcnt vmcnt(0)
	v_and_b32_e32 v32, 2, v0
	v_mov_b32_e32 v7, 0
	v_and_b32_e32 v2, -3, v0
	v_mov_b32_e32 v3, v1
	v_mov_b32_e32 v8, 2
	v_mov_b32_e32 v9, 1
	s_mov_b64 s[10:11], 48
	s_branch .LBB6_246
.LBB6_245:                              ;   in Loop: Header=BB6_246 Depth=1
	s_or_b32 exec_lo, exec_lo, s16
	s_sub_u32 s10, s10, s12
	s_subb_u32 s11, s11, s13
	s_add_u32 s8, s8, s12
	s_addc_u32 s9, s9, s13
	s_cmp_lg_u64 s[10:11], 0
	s_cbranch_scc0 .LBB6_321
.LBB6_246:                              ; =>This Loop Header: Depth=1
                                        ;     Child Loop BB6_249 Depth 2
                                        ;     Child Loop BB6_256 Depth 2
	;; [unrolled: 1-line block ×11, first 2 shown]
	v_cmp_lt_u64_e64 s0, s[10:11], 56
	v_cmp_gt_u64_e64 s14, s[10:11], 7
	s_and_b32 s0, s0, exec_lo
	s_cselect_b32 s13, s11, 0
	s_cselect_b32 s12, s10, 56
	s_add_u32 s0, s8, 8
	s_addc_u32 s1, s9, 0
	s_and_b32 vcc_lo, exec_lo, s14
	s_cbranch_vccnz .LBB6_251
; %bb.247:                              ;   in Loop: Header=BB6_246 Depth=1
	v_mov_b32_e32 v4, 0
	v_mov_b32_e32 v5, 0
	s_cmp_eq_u64 s[10:11], 0
	s_cbranch_scc1 .LBB6_250
; %bb.248:                              ;   in Loop: Header=BB6_246 Depth=1
	s_lshl_b64 s[0:1], s[12:13], 3
	s_mov_b64 s[14:15], 0
	s_mov_b64 s[16:17], s[8:9]
.LBB6_249:                              ;   Parent Loop BB6_246 Depth=1
                                        ; =>  This Inner Loop Header: Depth=2
	global_load_ubyte v6, v7, s[16:17]
	s_waitcnt vmcnt(0)
	v_and_b32_e32 v6, 0xffff, v6
	v_lshlrev_b64 v[10:11], s14, v[6:7]
	s_add_u32 s14, s14, 8
	s_addc_u32 s15, s15, 0
	s_add_u32 s16, s16, 1
	s_addc_u32 s17, s17, 0
	s_cmp_lg_u32 s0, s14
	v_or_b32_e32 v4, v10, v4
	v_or_b32_e32 v5, v11, v5
	s_cbranch_scc1 .LBB6_249
.LBB6_250:                              ;   in Loop: Header=BB6_246 Depth=1
	s_mov_b64 s[0:1], s[8:9]
	s_mov_b32 s18, 0
	s_cbranch_execz .LBB6_252
	s_branch .LBB6_253
.LBB6_251:                              ;   in Loop: Header=BB6_246 Depth=1
	s_mov_b32 s18, 0
.LBB6_252:                              ;   in Loop: Header=BB6_246 Depth=1
	global_load_dwordx2 v[4:5], v7, s[8:9]
	s_add_i32 s18, s12, -8
.LBB6_253:                              ;   in Loop: Header=BB6_246 Depth=1
	s_add_u32 s14, s0, 8
	s_addc_u32 s15, s1, 0
	s_cmp_gt_u32 s18, 7
	s_cbranch_scc1 .LBB6_258
; %bb.254:                              ;   in Loop: Header=BB6_246 Depth=1
	v_mov_b32_e32 v10, 0
	v_mov_b32_e32 v11, 0
	s_cmp_eq_u32 s18, 0
	s_cbranch_scc1 .LBB6_257
; %bb.255:                              ;   in Loop: Header=BB6_246 Depth=1
	s_mov_b64 s[14:15], 0
	s_mov_b64 s[16:17], 0
.LBB6_256:                              ;   Parent Loop BB6_246 Depth=1
                                        ; =>  This Inner Loop Header: Depth=2
	s_add_u32 s24, s0, s16
	s_addc_u32 s25, s1, s17
	s_add_u32 s16, s16, 1
	global_load_ubyte v6, v7, s[24:25]
	s_addc_u32 s17, s17, 0
	s_waitcnt vmcnt(0)
	v_and_b32_e32 v6, 0xffff, v6
	v_lshlrev_b64 v[12:13], s14, v[6:7]
	s_add_u32 s14, s14, 8
	s_addc_u32 s15, s15, 0
	s_cmp_lg_u32 s18, s16
	v_or_b32_e32 v10, v12, v10
	v_or_b32_e32 v11, v13, v11
	s_cbranch_scc1 .LBB6_256
.LBB6_257:                              ;   in Loop: Header=BB6_246 Depth=1
	s_mov_b64 s[14:15], s[0:1]
	s_mov_b32 s19, 0
	s_cbranch_execz .LBB6_259
	s_branch .LBB6_260
.LBB6_258:                              ;   in Loop: Header=BB6_246 Depth=1
                                        ; implicit-def: $vgpr10_vgpr11
	s_mov_b32 s19, 0
.LBB6_259:                              ;   in Loop: Header=BB6_246 Depth=1
	global_load_dwordx2 v[10:11], v7, s[0:1]
	s_add_i32 s19, s18, -8
.LBB6_260:                              ;   in Loop: Header=BB6_246 Depth=1
	s_add_u32 s0, s14, 8
	s_addc_u32 s1, s15, 0
	s_cmp_gt_u32 s19, 7
	s_cbranch_scc1 .LBB6_265
; %bb.261:                              ;   in Loop: Header=BB6_246 Depth=1
	v_mov_b32_e32 v12, 0
	v_mov_b32_e32 v13, 0
	s_cmp_eq_u32 s19, 0
	s_cbranch_scc1 .LBB6_264
; %bb.262:                              ;   in Loop: Header=BB6_246 Depth=1
	s_mov_b64 s[0:1], 0
	s_mov_b64 s[16:17], 0
.LBB6_263:                              ;   Parent Loop BB6_246 Depth=1
                                        ; =>  This Inner Loop Header: Depth=2
	s_add_u32 s24, s14, s16
	s_addc_u32 s25, s15, s17
	s_add_u32 s16, s16, 1
	global_load_ubyte v6, v7, s[24:25]
	s_addc_u32 s17, s17, 0
	s_waitcnt vmcnt(0)
	v_and_b32_e32 v6, 0xffff, v6
	v_lshlrev_b64 v[14:15], s0, v[6:7]
	s_add_u32 s0, s0, 8
	s_addc_u32 s1, s1, 0
	s_cmp_lg_u32 s19, s16
	v_or_b32_e32 v12, v14, v12
	v_or_b32_e32 v13, v15, v13
	s_cbranch_scc1 .LBB6_263
.LBB6_264:                              ;   in Loop: Header=BB6_246 Depth=1
	s_mov_b64 s[0:1], s[14:15]
	s_mov_b32 s18, 0
	s_cbranch_execz .LBB6_266
	s_branch .LBB6_267
.LBB6_265:                              ;   in Loop: Header=BB6_246 Depth=1
	s_mov_b32 s18, 0
.LBB6_266:                              ;   in Loop: Header=BB6_246 Depth=1
	global_load_dwordx2 v[12:13], v7, s[14:15]
	s_add_i32 s18, s19, -8
.LBB6_267:                              ;   in Loop: Header=BB6_246 Depth=1
	s_add_u32 s14, s0, 8
	s_addc_u32 s15, s1, 0
	s_cmp_gt_u32 s18, 7
	s_cbranch_scc1 .LBB6_272
; %bb.268:                              ;   in Loop: Header=BB6_246 Depth=1
	v_mov_b32_e32 v14, 0
	v_mov_b32_e32 v15, 0
	s_cmp_eq_u32 s18, 0
	s_cbranch_scc1 .LBB6_271
; %bb.269:                              ;   in Loop: Header=BB6_246 Depth=1
	s_mov_b64 s[14:15], 0
	s_mov_b64 s[16:17], 0
.LBB6_270:                              ;   Parent Loop BB6_246 Depth=1
                                        ; =>  This Inner Loop Header: Depth=2
	s_add_u32 s24, s0, s16
	s_addc_u32 s25, s1, s17
	s_add_u32 s16, s16, 1
	global_load_ubyte v6, v7, s[24:25]
	s_addc_u32 s17, s17, 0
	s_waitcnt vmcnt(0)
	v_and_b32_e32 v6, 0xffff, v6
	v_lshlrev_b64 v[16:17], s14, v[6:7]
	s_add_u32 s14, s14, 8
	s_addc_u32 s15, s15, 0
	s_cmp_lg_u32 s18, s16
	v_or_b32_e32 v14, v16, v14
	v_or_b32_e32 v15, v17, v15
	s_cbranch_scc1 .LBB6_270
.LBB6_271:                              ;   in Loop: Header=BB6_246 Depth=1
	s_mov_b64 s[14:15], s[0:1]
	s_mov_b32 s19, 0
	s_cbranch_execz .LBB6_273
	s_branch .LBB6_274
.LBB6_272:                              ;   in Loop: Header=BB6_246 Depth=1
                                        ; implicit-def: $vgpr14_vgpr15
	s_mov_b32 s19, 0
.LBB6_273:                              ;   in Loop: Header=BB6_246 Depth=1
	global_load_dwordx2 v[14:15], v7, s[0:1]
	s_add_i32 s19, s18, -8
.LBB6_274:                              ;   in Loop: Header=BB6_246 Depth=1
	s_add_u32 s0, s14, 8
	s_addc_u32 s1, s15, 0
	s_cmp_gt_u32 s19, 7
	s_cbranch_scc1 .LBB6_279
; %bb.275:                              ;   in Loop: Header=BB6_246 Depth=1
	v_mov_b32_e32 v16, 0
	v_mov_b32_e32 v17, 0
	s_cmp_eq_u32 s19, 0
	s_cbranch_scc1 .LBB6_278
; %bb.276:                              ;   in Loop: Header=BB6_246 Depth=1
	s_mov_b64 s[0:1], 0
	s_mov_b64 s[16:17], 0
.LBB6_277:                              ;   Parent Loop BB6_246 Depth=1
                                        ; =>  This Inner Loop Header: Depth=2
	s_add_u32 s24, s14, s16
	s_addc_u32 s25, s15, s17
	s_add_u32 s16, s16, 1
	global_load_ubyte v6, v7, s[24:25]
	s_addc_u32 s17, s17, 0
	s_waitcnt vmcnt(0)
	v_and_b32_e32 v6, 0xffff, v6
	v_lshlrev_b64 v[18:19], s0, v[6:7]
	s_add_u32 s0, s0, 8
	s_addc_u32 s1, s1, 0
	s_cmp_lg_u32 s19, s16
	v_or_b32_e32 v16, v18, v16
	v_or_b32_e32 v17, v19, v17
	s_cbranch_scc1 .LBB6_277
.LBB6_278:                              ;   in Loop: Header=BB6_246 Depth=1
	s_mov_b64 s[0:1], s[14:15]
	s_mov_b32 s18, 0
	s_cbranch_execz .LBB6_280
	s_branch .LBB6_281
.LBB6_279:                              ;   in Loop: Header=BB6_246 Depth=1
	s_mov_b32 s18, 0
.LBB6_280:                              ;   in Loop: Header=BB6_246 Depth=1
	global_load_dwordx2 v[16:17], v7, s[14:15]
	s_add_i32 s18, s19, -8
.LBB6_281:                              ;   in Loop: Header=BB6_246 Depth=1
	s_add_u32 s14, s0, 8
	s_addc_u32 s15, s1, 0
	s_cmp_gt_u32 s18, 7
	s_cbranch_scc1 .LBB6_286
; %bb.282:                              ;   in Loop: Header=BB6_246 Depth=1
	v_mov_b32_e32 v18, 0
	v_mov_b32_e32 v19, 0
	s_cmp_eq_u32 s18, 0
	s_cbranch_scc1 .LBB6_285
; %bb.283:                              ;   in Loop: Header=BB6_246 Depth=1
	s_mov_b64 s[14:15], 0
	s_mov_b64 s[16:17], 0
.LBB6_284:                              ;   Parent Loop BB6_246 Depth=1
                                        ; =>  This Inner Loop Header: Depth=2
	s_add_u32 s24, s0, s16
	s_addc_u32 s25, s1, s17
	s_add_u32 s16, s16, 1
	global_load_ubyte v6, v7, s[24:25]
	s_addc_u32 s17, s17, 0
	s_waitcnt vmcnt(0)
	v_and_b32_e32 v6, 0xffff, v6
	v_lshlrev_b64 v[20:21], s14, v[6:7]
	s_add_u32 s14, s14, 8
	s_addc_u32 s15, s15, 0
	s_cmp_lg_u32 s18, s16
	v_or_b32_e32 v18, v20, v18
	v_or_b32_e32 v19, v21, v19
	s_cbranch_scc1 .LBB6_284
.LBB6_285:                              ;   in Loop: Header=BB6_246 Depth=1
	s_mov_b64 s[14:15], s[0:1]
	s_mov_b32 s19, 0
	s_cbranch_execz .LBB6_287
	s_branch .LBB6_288
.LBB6_286:                              ;   in Loop: Header=BB6_246 Depth=1
                                        ; implicit-def: $vgpr18_vgpr19
	s_mov_b32 s19, 0
.LBB6_287:                              ;   in Loop: Header=BB6_246 Depth=1
	global_load_dwordx2 v[18:19], v7, s[0:1]
	s_add_i32 s19, s18, -8
.LBB6_288:                              ;   in Loop: Header=BB6_246 Depth=1
	s_cmp_gt_u32 s19, 7
	s_cbranch_scc1 .LBB6_293
; %bb.289:                              ;   in Loop: Header=BB6_246 Depth=1
	v_mov_b32_e32 v20, 0
	v_mov_b32_e32 v21, 0
	s_cmp_eq_u32 s19, 0
	s_cbranch_scc1 .LBB6_292
; %bb.290:                              ;   in Loop: Header=BB6_246 Depth=1
	s_mov_b64 s[0:1], 0
	s_mov_b64 s[16:17], s[14:15]
.LBB6_291:                              ;   Parent Loop BB6_246 Depth=1
                                        ; =>  This Inner Loop Header: Depth=2
	global_load_ubyte v6, v7, s[16:17]
	s_add_i32 s19, s19, -1
	s_waitcnt vmcnt(0)
	v_and_b32_e32 v6, 0xffff, v6
	v_lshlrev_b64 v[22:23], s0, v[6:7]
	s_add_u32 s0, s0, 8
	s_addc_u32 s1, s1, 0
	s_add_u32 s16, s16, 1
	s_addc_u32 s17, s17, 0
	s_cmp_lg_u32 s19, 0
	v_or_b32_e32 v20, v22, v20
	v_or_b32_e32 v21, v23, v21
	s_cbranch_scc1 .LBB6_291
.LBB6_292:                              ;   in Loop: Header=BB6_246 Depth=1
	s_cbranch_execz .LBB6_294
	s_branch .LBB6_295
.LBB6_293:                              ;   in Loop: Header=BB6_246 Depth=1
.LBB6_294:                              ;   in Loop: Header=BB6_246 Depth=1
	global_load_dwordx2 v[20:21], v7, s[14:15]
.LBB6_295:                              ;   in Loop: Header=BB6_246 Depth=1
	v_readfirstlane_b32 s0, v31
	v_mov_b32_e32 v27, 0
	v_mov_b32_e32 v28, 0
	v_cmp_eq_u32_e64 s0, s0, v31
	s_and_saveexec_b32 s1, s0
	s_cbranch_execz .LBB6_301
; %bb.296:                              ;   in Loop: Header=BB6_246 Depth=1
	global_load_dwordx2 v[24:25], v7, s[6:7] offset:24 glc dlc
	s_waitcnt vmcnt(0)
	buffer_gl1_inv
	buffer_gl0_inv
	s_clause 0x1
	global_load_dwordx2 v[22:23], v7, s[6:7] offset:40
	global_load_dwordx2 v[27:28], v7, s[6:7]
	s_mov_b32 s14, exec_lo
	s_waitcnt vmcnt(1)
	v_and_b32_e32 v6, v23, v25
	v_and_b32_e32 v22, v22, v24
	v_mul_lo_u32 v6, v6, 24
	v_mul_hi_u32 v23, v22, 24
	v_mul_lo_u32 v22, v22, 24
	v_add_nc_u32_e32 v6, v23, v6
	s_waitcnt vmcnt(0)
	v_add_co_u32 v22, vcc_lo, v27, v22
	v_add_co_ci_u32_e64 v23, null, v28, v6, vcc_lo
	global_load_dwordx2 v[22:23], v[22:23], off glc dlc
	s_waitcnt vmcnt(0)
	global_atomic_cmpswap_x2 v[27:28], v7, v[22:25], s[6:7] offset:24 glc
	s_waitcnt vmcnt(0)
	buffer_gl1_inv
	buffer_gl0_inv
	v_cmpx_ne_u64_e64 v[27:28], v[24:25]
	s_cbranch_execz .LBB6_300
; %bb.297:                              ;   in Loop: Header=BB6_246 Depth=1
	s_mov_b32 s15, 0
	.p2align	6
.LBB6_298:                              ;   Parent Loop BB6_246 Depth=1
                                        ; =>  This Inner Loop Header: Depth=2
	s_sleep 1
	s_clause 0x1
	global_load_dwordx2 v[22:23], v7, s[6:7] offset:40
	global_load_dwordx2 v[33:34], v7, s[6:7]
	v_mov_b32_e32 v24, v27
	v_mov_b32_e32 v25, v28
	s_waitcnt vmcnt(1)
	v_and_b32_e32 v6, v22, v24
	v_and_b32_e32 v22, v23, v25
	s_waitcnt vmcnt(0)
	v_mad_u64_u32 v[27:28], null, v6, 24, v[33:34]
	v_mov_b32_e32 v6, v28
	v_mad_u64_u32 v[22:23], null, v22, 24, v[6:7]
	v_mov_b32_e32 v28, v22
	global_load_dwordx2 v[22:23], v[27:28], off glc dlc
	s_waitcnt vmcnt(0)
	global_atomic_cmpswap_x2 v[27:28], v7, v[22:25], s[6:7] offset:24 glc
	s_waitcnt vmcnt(0)
	buffer_gl1_inv
	buffer_gl0_inv
	v_cmp_eq_u64_e32 vcc_lo, v[27:28], v[24:25]
	s_or_b32 s15, vcc_lo, s15
	s_andn2_b32 exec_lo, exec_lo, s15
	s_cbranch_execnz .LBB6_298
; %bb.299:                              ;   in Loop: Header=BB6_246 Depth=1
	s_or_b32 exec_lo, exec_lo, s15
.LBB6_300:                              ;   in Loop: Header=BB6_246 Depth=1
	s_or_b32 exec_lo, exec_lo, s14
.LBB6_301:                              ;   in Loop: Header=BB6_246 Depth=1
	s_or_b32 exec_lo, exec_lo, s1
	s_clause 0x1
	global_load_dwordx2 v[33:34], v7, s[6:7] offset:40
	global_load_dwordx4 v[22:25], v7, s[6:7]
	v_readfirstlane_b32 s15, v28
	v_readfirstlane_b32 s14, v27
	s_mov_b32 s1, exec_lo
	s_waitcnt vmcnt(1)
	v_readfirstlane_b32 s16, v33
	v_readfirstlane_b32 s17, v34
	s_and_b64 s[16:17], s[16:17], s[14:15]
	s_mul_i32 s18, s17, 24
	s_mul_hi_u32 s19, s16, 24
	s_mul_i32 s24, s16, 24
	s_add_i32 s19, s19, s18
	s_waitcnt vmcnt(0)
	v_add_co_u32 v27, vcc_lo, v22, s24
	v_add_co_ci_u32_e64 v28, null, s19, v23, vcc_lo
	s_and_saveexec_b32 s18, s0
	s_cbranch_execz .LBB6_303
; %bb.302:                              ;   in Loop: Header=BB6_246 Depth=1
	v_mov_b32_e32 v6, s1
	global_store_dwordx4 v[27:28], v[6:9], off offset:8
.LBB6_303:                              ;   in Loop: Header=BB6_246 Depth=1
	s_or_b32 exec_lo, exec_lo, s18
	v_cmp_lt_u64_e64 vcc_lo, s[10:11], 57
	s_lshl_b64 s[16:17], s[16:17], 12
	v_and_b32_e32 v2, 0xffffff1f, v2
	s_lshl_b32 s1, s12, 2
	s_add_i32 s1, s1, 28
	v_cndmask_b32_e32 v6, 0, v32, vcc_lo
	v_add_co_u32 v24, vcc_lo, v24, s16
	v_add_co_ci_u32_e64 v25, null, s17, v25, vcc_lo
	v_or_b32_e32 v2, v2, v6
	v_readfirstlane_b32 s16, v24
	v_readfirstlane_b32 s17, v25
	v_and_or_b32 v2, 0x1e0, s1, v2
	global_store_dwordx4 v30, v[10:13], s[16:17] offset:16
	global_store_dwordx4 v30, v[2:5], s[16:17]
	global_store_dwordx4 v30, v[14:17], s[16:17] offset:32
	global_store_dwordx4 v30, v[18:21], s[16:17] offset:48
	s_and_saveexec_b32 s1, s0
	s_cbranch_execz .LBB6_311
; %bb.304:                              ;   in Loop: Header=BB6_246 Depth=1
	s_clause 0x1
	global_load_dwordx2 v[14:15], v7, s[6:7] offset:32 glc dlc
	global_load_dwordx2 v[2:3], v7, s[6:7] offset:40
	v_mov_b32_e32 v12, s14
	v_mov_b32_e32 v13, s15
	s_waitcnt vmcnt(0)
	v_readfirstlane_b32 s16, v2
	v_readfirstlane_b32 s17, v3
	s_and_b64 s[16:17], s[16:17], s[14:15]
	s_mul_i32 s17, s17, 24
	s_mul_hi_u32 s18, s16, 24
	s_mul_i32 s16, s16, 24
	s_add_i32 s18, s18, s17
	v_add_co_u32 v10, vcc_lo, v22, s16
	v_add_co_ci_u32_e64 v11, null, s18, v23, vcc_lo
	s_mov_b32 s16, exec_lo
	global_store_dwordx2 v[10:11], v[14:15], off
	s_waitcnt_vscnt null, 0x0
	global_atomic_cmpswap_x2 v[4:5], v7, v[12:15], s[6:7] offset:32 glc
	s_waitcnt vmcnt(0)
	v_cmpx_ne_u64_e64 v[4:5], v[14:15]
	s_cbranch_execz .LBB6_307
; %bb.305:                              ;   in Loop: Header=BB6_246 Depth=1
	s_mov_b32 s17, 0
.LBB6_306:                              ;   Parent Loop BB6_246 Depth=1
                                        ; =>  This Inner Loop Header: Depth=2
	v_mov_b32_e32 v2, s14
	v_mov_b32_e32 v3, s15
	s_sleep 1
	global_store_dwordx2 v[10:11], v[4:5], off
	s_waitcnt_vscnt null, 0x0
	global_atomic_cmpswap_x2 v[2:3], v7, v[2:5], s[6:7] offset:32 glc
	s_waitcnt vmcnt(0)
	v_cmp_eq_u64_e32 vcc_lo, v[2:3], v[4:5]
	v_mov_b32_e32 v5, v3
	v_mov_b32_e32 v4, v2
	s_or_b32 s17, vcc_lo, s17
	s_andn2_b32 exec_lo, exec_lo, s17
	s_cbranch_execnz .LBB6_306
.LBB6_307:                              ;   in Loop: Header=BB6_246 Depth=1
	s_or_b32 exec_lo, exec_lo, s16
	global_load_dwordx2 v[2:3], v7, s[6:7] offset:16
	s_mov_b32 s17, exec_lo
	s_mov_b32 s16, exec_lo
	v_mbcnt_lo_u32_b32 v4, s17, 0
	v_cmpx_eq_u32_e32 0, v4
	s_cbranch_execz .LBB6_309
; %bb.308:                              ;   in Loop: Header=BB6_246 Depth=1
	s_bcnt1_i32_b32 s17, s17
	v_mov_b32_e32 v6, s17
	s_waitcnt vmcnt(0)
	global_atomic_add_x2 v[2:3], v[6:7], off offset:8
.LBB6_309:                              ;   in Loop: Header=BB6_246 Depth=1
	s_or_b32 exec_lo, exec_lo, s16
	s_waitcnt vmcnt(0)
	global_load_dwordx2 v[4:5], v[2:3], off offset:16
	s_waitcnt vmcnt(0)
	v_cmp_eq_u64_e32 vcc_lo, 0, v[4:5]
	s_cbranch_vccnz .LBB6_311
; %bb.310:                              ;   in Loop: Header=BB6_246 Depth=1
	global_load_dword v6, v[2:3], off offset:24
	s_waitcnt vmcnt(0)
	v_readfirstlane_b32 s16, v6
	s_waitcnt_vscnt null, 0x0
	global_store_dwordx2 v[4:5], v[6:7], off
	s_and_b32 m0, s16, 0x7fffff
	s_sendmsg sendmsg(MSG_INTERRUPT)
.LBB6_311:                              ;   in Loop: Header=BB6_246 Depth=1
	s_or_b32 exec_lo, exec_lo, s1
	v_add_co_u32 v2, vcc_lo, v24, v30
	v_add_co_ci_u32_e64 v3, null, 0, v25, vcc_lo
	s_branch .LBB6_315
	.p2align	6
.LBB6_312:                              ;   in Loop: Header=BB6_315 Depth=2
	s_or_b32 exec_lo, exec_lo, s1
	v_readfirstlane_b32 s1, v4
	s_cmp_eq_u32 s1, 0
	s_cbranch_scc1 .LBB6_314
; %bb.313:                              ;   in Loop: Header=BB6_315 Depth=2
	s_sleep 1
	s_cbranch_execnz .LBB6_315
	s_branch .LBB6_317
	.p2align	6
.LBB6_314:                              ;   in Loop: Header=BB6_246 Depth=1
	s_branch .LBB6_317
.LBB6_315:                              ;   Parent Loop BB6_246 Depth=1
                                        ; =>  This Inner Loop Header: Depth=2
	v_mov_b32_e32 v4, 1
	s_and_saveexec_b32 s1, s0
	s_cbranch_execz .LBB6_312
; %bb.316:                              ;   in Loop: Header=BB6_315 Depth=2
	global_load_dword v4, v[27:28], off offset:20 glc dlc
	s_waitcnt vmcnt(0)
	buffer_gl1_inv
	buffer_gl0_inv
	v_and_b32_e32 v4, 1, v4
	s_branch .LBB6_312
.LBB6_317:                              ;   in Loop: Header=BB6_246 Depth=1
	global_load_dwordx2 v[2:3], v[2:3], off
	s_and_saveexec_b32 s16, s0
	s_cbranch_execz .LBB6_245
; %bb.318:                              ;   in Loop: Header=BB6_246 Depth=1
	s_clause 0x2
	global_load_dwordx2 v[4:5], v7, s[6:7] offset:40
	global_load_dwordx2 v[14:15], v7, s[6:7] offset:24 glc dlc
	global_load_dwordx2 v[10:11], v7, s[6:7]
	s_waitcnt vmcnt(2)
	v_readfirstlane_b32 s18, v4
	v_readfirstlane_b32 s19, v5
	s_add_u32 s17, s18, 1
	s_addc_u32 s24, s19, 0
	s_add_u32 s0, s17, s14
	s_addc_u32 s1, s24, s15
	s_cmp_eq_u64 s[0:1], 0
	s_cselect_b32 s1, s24, s1
	s_cselect_b32 s0, s17, s0
	v_mov_b32_e32 v13, s1
	s_and_b64 s[14:15], s[0:1], s[18:19]
	v_mov_b32_e32 v12, s0
	s_mul_i32 s15, s15, 24
	s_mul_hi_u32 s17, s14, 24
	s_mul_i32 s14, s14, 24
	s_add_i32 s17, s17, s15
	s_waitcnt vmcnt(0)
	v_add_co_u32 v4, vcc_lo, v10, s14
	v_add_co_ci_u32_e64 v5, null, s17, v11, vcc_lo
	global_store_dwordx2 v[4:5], v[14:15], off
	s_waitcnt_vscnt null, 0x0
	global_atomic_cmpswap_x2 v[12:13], v7, v[12:15], s[6:7] offset:24 glc
	s_waitcnt vmcnt(0)
	v_cmp_ne_u64_e32 vcc_lo, v[12:13], v[14:15]
	s_and_b32 exec_lo, exec_lo, vcc_lo
	s_cbranch_execz .LBB6_245
; %bb.319:                              ;   in Loop: Header=BB6_246 Depth=1
	s_mov_b32 s14, 0
.LBB6_320:                              ;   Parent Loop BB6_246 Depth=1
                                        ; =>  This Inner Loop Header: Depth=2
	v_mov_b32_e32 v10, s0
	v_mov_b32_e32 v11, s1
	s_sleep 1
	global_store_dwordx2 v[4:5], v[12:13], off
	s_waitcnt_vscnt null, 0x0
	global_atomic_cmpswap_x2 v[10:11], v7, v[10:13], s[6:7] offset:24 glc
	s_waitcnt vmcnt(0)
	v_cmp_eq_u64_e32 vcc_lo, v[10:11], v[12:13]
	v_mov_b32_e32 v13, v11
	v_mov_b32_e32 v12, v10
	s_or_b32 s14, vcc_lo, s14
	s_andn2_b32 exec_lo, exec_lo, s14
	s_cbranch_execnz .LBB6_320
	s_branch .LBB6_245
.LBB6_321:
	s_branch .LBB6_350
.LBB6_322:
                                        ; implicit-def: $vgpr2_vgpr3
	s_cbranch_execz .LBB6_350
; %bb.323:
	v_readfirstlane_b32 s0, v31
	v_mov_b32_e32 v8, 0
	v_mov_b32_e32 v9, 0
	v_cmp_eq_u32_e64 s0, s0, v31
	s_and_saveexec_b32 s1, s0
	s_cbranch_execz .LBB6_329
; %bb.324:
	s_waitcnt vmcnt(0)
	v_mov_b32_e32 v2, 0
	s_mov_b32 s8, exec_lo
	global_load_dwordx2 v[5:6], v2, s[6:7] offset:24 glc dlc
	s_waitcnt vmcnt(0)
	buffer_gl1_inv
	buffer_gl0_inv
	s_clause 0x1
	global_load_dwordx2 v[3:4], v2, s[6:7] offset:40
	global_load_dwordx2 v[7:8], v2, s[6:7]
	s_waitcnt vmcnt(1)
	v_and_b32_e32 v4, v4, v6
	v_and_b32_e32 v3, v3, v5
	v_mul_lo_u32 v4, v4, 24
	v_mul_hi_u32 v9, v3, 24
	v_mul_lo_u32 v3, v3, 24
	v_add_nc_u32_e32 v4, v9, v4
	s_waitcnt vmcnt(0)
	v_add_co_u32 v3, vcc_lo, v7, v3
	v_add_co_ci_u32_e64 v4, null, v8, v4, vcc_lo
	global_load_dwordx2 v[3:4], v[3:4], off glc dlc
	s_waitcnt vmcnt(0)
	global_atomic_cmpswap_x2 v[8:9], v2, v[3:6], s[6:7] offset:24 glc
	s_waitcnt vmcnt(0)
	buffer_gl1_inv
	buffer_gl0_inv
	v_cmpx_ne_u64_e64 v[8:9], v[5:6]
	s_cbranch_execz .LBB6_328
; %bb.325:
	s_mov_b32 s9, 0
	.p2align	6
.LBB6_326:                              ; =>This Inner Loop Header: Depth=1
	s_sleep 1
	s_clause 0x1
	global_load_dwordx2 v[3:4], v2, s[6:7] offset:40
	global_load_dwordx2 v[10:11], v2, s[6:7]
	v_mov_b32_e32 v5, v8
	v_mov_b32_e32 v6, v9
	s_waitcnt vmcnt(1)
	v_and_b32_e32 v3, v3, v5
	v_and_b32_e32 v4, v4, v6
	s_waitcnt vmcnt(0)
	v_mad_u64_u32 v[7:8], null, v3, 24, v[10:11]
	v_mov_b32_e32 v3, v8
	v_mad_u64_u32 v[3:4], null, v4, 24, v[3:4]
	v_mov_b32_e32 v8, v3
	global_load_dwordx2 v[3:4], v[7:8], off glc dlc
	s_waitcnt vmcnt(0)
	global_atomic_cmpswap_x2 v[8:9], v2, v[3:6], s[6:7] offset:24 glc
	s_waitcnt vmcnt(0)
	buffer_gl1_inv
	buffer_gl0_inv
	v_cmp_eq_u64_e32 vcc_lo, v[8:9], v[5:6]
	s_or_b32 s9, vcc_lo, s9
	s_andn2_b32 exec_lo, exec_lo, s9
	s_cbranch_execnz .LBB6_326
; %bb.327:
	s_or_b32 exec_lo, exec_lo, s9
.LBB6_328:
	s_or_b32 exec_lo, exec_lo, s8
.LBB6_329:
	s_or_b32 exec_lo, exec_lo, s1
	s_waitcnt vmcnt(0)
	v_mov_b32_e32 v2, 0
	v_readfirstlane_b32 s9, v9
	v_readfirstlane_b32 s8, v8
	s_mov_b32 s1, exec_lo
	s_clause 0x1
	global_load_dwordx2 v[10:11], v2, s[6:7] offset:40
	global_load_dwordx4 v[4:7], v2, s[6:7]
	s_waitcnt vmcnt(1)
	v_readfirstlane_b32 s10, v10
	v_readfirstlane_b32 s11, v11
	s_and_b64 s[10:11], s[10:11], s[8:9]
	s_mul_i32 s12, s11, 24
	s_mul_hi_u32 s13, s10, 24
	s_mul_i32 s14, s10, 24
	s_add_i32 s13, s13, s12
	s_waitcnt vmcnt(0)
	v_add_co_u32 v8, vcc_lo, v4, s14
	v_add_co_ci_u32_e64 v9, null, s13, v5, vcc_lo
	s_and_saveexec_b32 s12, s0
	s_cbranch_execz .LBB6_331
; %bb.330:
	v_mov_b32_e32 v10, s1
	v_mov_b32_e32 v11, v2
	;; [unrolled: 1-line block ×4, first 2 shown]
	global_store_dwordx4 v[8:9], v[10:13], off offset:8
.LBB6_331:
	s_or_b32 exec_lo, exec_lo, s12
	s_lshl_b64 s[10:11], s[10:11], 12
	s_mov_b32 s12, 0
	v_add_co_u32 v6, vcc_lo, v6, s10
	v_add_co_ci_u32_e64 v7, null, s11, v7, vcc_lo
	s_mov_b32 s13, s12
	v_readfirstlane_b32 s10, v6
	v_add_co_u32 v6, vcc_lo, v6, v30
	s_mov_b32 s14, s12
	s_mov_b32 s15, s12
	v_and_or_b32 v0, 0xffffff1f, v0, 32
	v_mov_b32_e32 v3, v2
	v_readfirstlane_b32 s11, v7
	v_mov_b32_e32 v10, s12
	v_add_co_ci_u32_e64 v7, null, 0, v7, vcc_lo
	v_mov_b32_e32 v11, s13
	v_mov_b32_e32 v12, s14
	;; [unrolled: 1-line block ×3, first 2 shown]
	global_store_dwordx4 v30, v[0:3], s[10:11]
	global_store_dwordx4 v30, v[10:13], s[10:11] offset:16
	global_store_dwordx4 v30, v[10:13], s[10:11] offset:32
	global_store_dwordx4 v30, v[10:13], s[10:11] offset:48
	s_and_saveexec_b32 s1, s0
	s_cbranch_execz .LBB6_339
; %bb.332:
	v_mov_b32_e32 v10, 0
	v_mov_b32_e32 v11, s8
	;; [unrolled: 1-line block ×3, first 2 shown]
	s_clause 0x1
	global_load_dwordx2 v[13:14], v10, s[6:7] offset:32 glc dlc
	global_load_dwordx2 v[0:1], v10, s[6:7] offset:40
	s_waitcnt vmcnt(0)
	v_readfirstlane_b32 s10, v0
	v_readfirstlane_b32 s11, v1
	s_and_b64 s[10:11], s[10:11], s[8:9]
	s_mul_i32 s11, s11, 24
	s_mul_hi_u32 s12, s10, 24
	s_mul_i32 s10, s10, 24
	s_add_i32 s12, s12, s11
	v_add_co_u32 v4, vcc_lo, v4, s10
	v_add_co_ci_u32_e64 v5, null, s12, v5, vcc_lo
	s_mov_b32 s10, exec_lo
	global_store_dwordx2 v[4:5], v[13:14], off
	s_waitcnt_vscnt null, 0x0
	global_atomic_cmpswap_x2 v[2:3], v10, v[11:14], s[6:7] offset:32 glc
	s_waitcnt vmcnt(0)
	v_cmpx_ne_u64_e64 v[2:3], v[13:14]
	s_cbranch_execz .LBB6_335
; %bb.333:
	s_mov_b32 s11, 0
.LBB6_334:                              ; =>This Inner Loop Header: Depth=1
	v_mov_b32_e32 v0, s8
	v_mov_b32_e32 v1, s9
	s_sleep 1
	global_store_dwordx2 v[4:5], v[2:3], off
	s_waitcnt_vscnt null, 0x0
	global_atomic_cmpswap_x2 v[0:1], v10, v[0:3], s[6:7] offset:32 glc
	s_waitcnt vmcnt(0)
	v_cmp_eq_u64_e32 vcc_lo, v[0:1], v[2:3]
	v_mov_b32_e32 v3, v1
	v_mov_b32_e32 v2, v0
	s_or_b32 s11, vcc_lo, s11
	s_andn2_b32 exec_lo, exec_lo, s11
	s_cbranch_execnz .LBB6_334
.LBB6_335:
	s_or_b32 exec_lo, exec_lo, s10
	v_mov_b32_e32 v3, 0
	s_mov_b32 s11, exec_lo
	s_mov_b32 s10, exec_lo
	v_mbcnt_lo_u32_b32 v2, s11, 0
	global_load_dwordx2 v[0:1], v3, s[6:7] offset:16
	v_cmpx_eq_u32_e32 0, v2
	s_cbranch_execz .LBB6_337
; %bb.336:
	s_bcnt1_i32_b32 s11, s11
	v_mov_b32_e32 v2, s11
	s_waitcnt vmcnt(0)
	global_atomic_add_x2 v[0:1], v[2:3], off offset:8
.LBB6_337:
	s_or_b32 exec_lo, exec_lo, s10
	s_waitcnt vmcnt(0)
	global_load_dwordx2 v[2:3], v[0:1], off offset:16
	s_waitcnt vmcnt(0)
	v_cmp_eq_u64_e32 vcc_lo, 0, v[2:3]
	s_cbranch_vccnz .LBB6_339
; %bb.338:
	global_load_dword v0, v[0:1], off offset:24
	v_mov_b32_e32 v1, 0
	s_waitcnt vmcnt(0)
	v_readfirstlane_b32 s10, v0
	s_waitcnt_vscnt null, 0x0
	global_store_dwordx2 v[2:3], v[0:1], off
	s_and_b32 m0, s10, 0x7fffff
	s_sendmsg sendmsg(MSG_INTERRUPT)
.LBB6_339:
	s_or_b32 exec_lo, exec_lo, s1
	s_branch .LBB6_343
	.p2align	6
.LBB6_340:                              ;   in Loop: Header=BB6_343 Depth=1
	s_or_b32 exec_lo, exec_lo, s1
	v_readfirstlane_b32 s1, v0
	s_cmp_eq_u32 s1, 0
	s_cbranch_scc1 .LBB6_342
; %bb.341:                              ;   in Loop: Header=BB6_343 Depth=1
	s_sleep 1
	s_cbranch_execnz .LBB6_343
	s_branch .LBB6_345
	.p2align	6
.LBB6_342:
	s_branch .LBB6_345
.LBB6_343:                              ; =>This Inner Loop Header: Depth=1
	v_mov_b32_e32 v0, 1
	s_and_saveexec_b32 s1, s0
	s_cbranch_execz .LBB6_340
; %bb.344:                              ;   in Loop: Header=BB6_343 Depth=1
	global_load_dword v0, v[8:9], off offset:20 glc dlc
	s_waitcnt vmcnt(0)
	buffer_gl1_inv
	buffer_gl0_inv
	v_and_b32_e32 v0, 1, v0
	s_branch .LBB6_340
.LBB6_345:
	global_load_dwordx2 v[2:3], v[6:7], off
	s_and_saveexec_b32 s10, s0
	s_cbranch_execz .LBB6_349
; %bb.346:
	v_mov_b32_e32 v8, 0
	s_clause 0x2
	global_load_dwordx2 v[0:1], v8, s[6:7] offset:40
	global_load_dwordx2 v[11:12], v8, s[6:7] offset:24 glc dlc
	global_load_dwordx2 v[4:5], v8, s[6:7]
	s_waitcnt vmcnt(2)
	v_readfirstlane_b32 s12, v0
	v_readfirstlane_b32 s13, v1
	s_add_u32 s11, s12, 1
	s_addc_u32 s14, s13, 0
	s_add_u32 s0, s11, s8
	s_addc_u32 s1, s14, s9
	s_cmp_eq_u64 s[0:1], 0
	s_cselect_b32 s1, s14, s1
	s_cselect_b32 s0, s11, s0
	v_mov_b32_e32 v10, s1
	s_and_b64 s[8:9], s[0:1], s[12:13]
	v_mov_b32_e32 v9, s0
	s_mul_i32 s9, s9, 24
	s_mul_hi_u32 s11, s8, 24
	s_mul_i32 s8, s8, 24
	s_add_i32 s11, s11, s9
	s_waitcnt vmcnt(0)
	v_add_co_u32 v0, vcc_lo, v4, s8
	v_add_co_ci_u32_e64 v1, null, s11, v5, vcc_lo
	global_store_dwordx2 v[0:1], v[11:12], off
	s_waitcnt_vscnt null, 0x0
	global_atomic_cmpswap_x2 v[6:7], v8, v[9:12], s[6:7] offset:24 glc
	s_waitcnt vmcnt(0)
	v_cmp_ne_u64_e32 vcc_lo, v[6:7], v[11:12]
	s_and_b32 exec_lo, exec_lo, vcc_lo
	s_cbranch_execz .LBB6_349
; %bb.347:
	s_mov_b32 s8, 0
.LBB6_348:                              ; =>This Inner Loop Header: Depth=1
	v_mov_b32_e32 v4, s0
	v_mov_b32_e32 v5, s1
	s_sleep 1
	global_store_dwordx2 v[0:1], v[6:7], off
	s_waitcnt_vscnt null, 0x0
	global_atomic_cmpswap_x2 v[4:5], v8, v[4:7], s[6:7] offset:24 glc
	s_waitcnt vmcnt(0)
	v_cmp_eq_u64_e32 vcc_lo, v[4:5], v[6:7]
	v_mov_b32_e32 v7, v5
	v_mov_b32_e32 v6, v4
	s_or_b32 s8, vcc_lo, s8
	s_andn2_b32 exec_lo, exec_lo, s8
	s_cbranch_execnz .LBB6_348
.LBB6_349:
	s_or_b32 exec_lo, exec_lo, s10
.LBB6_350:
	v_readfirstlane_b32 s0, v31
	s_waitcnt vmcnt(0)
	v_mov_b32_e32 v0, 0
	v_mov_b32_e32 v1, 0
	v_cmp_eq_u32_e64 s0, s0, v31
	s_and_saveexec_b32 s1, s0
	s_cbranch_execz .LBB6_356
; %bb.351:
	v_mov_b32_e32 v4, 0
	s_mov_b32 s8, exec_lo
	global_load_dwordx2 v[7:8], v4, s[6:7] offset:24 glc dlc
	s_waitcnt vmcnt(0)
	buffer_gl1_inv
	buffer_gl0_inv
	s_clause 0x1
	global_load_dwordx2 v[0:1], v4, s[6:7] offset:40
	global_load_dwordx2 v[5:6], v4, s[6:7]
	s_waitcnt vmcnt(1)
	v_and_b32_e32 v1, v1, v8
	v_and_b32_e32 v0, v0, v7
	v_mul_lo_u32 v1, v1, 24
	v_mul_hi_u32 v9, v0, 24
	v_mul_lo_u32 v0, v0, 24
	v_add_nc_u32_e32 v1, v9, v1
	s_waitcnt vmcnt(0)
	v_add_co_u32 v0, vcc_lo, v5, v0
	v_add_co_ci_u32_e64 v1, null, v6, v1, vcc_lo
	global_load_dwordx2 v[5:6], v[0:1], off glc dlc
	s_waitcnt vmcnt(0)
	global_atomic_cmpswap_x2 v[0:1], v4, v[5:8], s[6:7] offset:24 glc
	s_waitcnt vmcnt(0)
	buffer_gl1_inv
	buffer_gl0_inv
	v_cmpx_ne_u64_e64 v[0:1], v[7:8]
	s_cbranch_execz .LBB6_355
; %bb.352:
	s_mov_b32 s9, 0
	.p2align	6
.LBB6_353:                              ; =>This Inner Loop Header: Depth=1
	s_sleep 1
	s_clause 0x1
	global_load_dwordx2 v[5:6], v4, s[6:7] offset:40
	global_load_dwordx2 v[9:10], v4, s[6:7]
	v_mov_b32_e32 v8, v1
	v_mov_b32_e32 v7, v0
	s_waitcnt vmcnt(1)
	v_and_b32_e32 v0, v5, v7
	v_and_b32_e32 v5, v6, v8
	s_waitcnt vmcnt(0)
	v_mad_u64_u32 v[0:1], null, v0, 24, v[9:10]
	v_mad_u64_u32 v[5:6], null, v5, 24, v[1:2]
	v_mov_b32_e32 v1, v5
	global_load_dwordx2 v[5:6], v[0:1], off glc dlc
	s_waitcnt vmcnt(0)
	global_atomic_cmpswap_x2 v[0:1], v4, v[5:8], s[6:7] offset:24 glc
	s_waitcnt vmcnt(0)
	buffer_gl1_inv
	buffer_gl0_inv
	v_cmp_eq_u64_e32 vcc_lo, v[0:1], v[7:8]
	s_or_b32 s9, vcc_lo, s9
	s_andn2_b32 exec_lo, exec_lo, s9
	s_cbranch_execnz .LBB6_353
; %bb.354:
	s_or_b32 exec_lo, exec_lo, s9
.LBB6_355:
	s_or_b32 exec_lo, exec_lo, s8
.LBB6_356:
	s_or_b32 exec_lo, exec_lo, s1
	v_mov_b32_e32 v5, 0
	v_readfirstlane_b32 s9, v1
	v_readfirstlane_b32 s8, v0
	s_mov_b32 s1, exec_lo
	s_clause 0x1
	global_load_dwordx2 v[10:11], v5, s[6:7] offset:40
	global_load_dwordx4 v[6:9], v5, s[6:7]
	s_waitcnt vmcnt(1)
	v_readfirstlane_b32 s10, v10
	v_readfirstlane_b32 s11, v11
	s_and_b64 s[10:11], s[10:11], s[8:9]
	s_mul_i32 s12, s11, 24
	s_mul_hi_u32 s13, s10, 24
	s_mul_i32 s14, s10, 24
	s_add_i32 s13, s13, s12
	s_waitcnt vmcnt(0)
	v_add_co_u32 v10, vcc_lo, v6, s14
	v_add_co_ci_u32_e64 v11, null, s13, v7, vcc_lo
	s_and_saveexec_b32 s12, s0
	s_cbranch_execz .LBB6_358
; %bb.357:
	v_mov_b32_e32 v4, s1
	v_mov_b32_e32 v13, v5
	;; [unrolled: 1-line block ×5, first 2 shown]
	global_store_dwordx4 v[10:11], v[12:15], off offset:8
.LBB6_358:
	s_or_b32 exec_lo, exec_lo, s12
	s_lshl_b64 s[10:11], s[10:11], 12
	s_mov_b32 s12, 0
	v_add_co_u32 v0, vcc_lo, v8, s10
	v_add_co_ci_u32_e64 v1, null, s11, v9, vcc_lo
	s_lshr_b32 s1, s20, 5
	v_add_co_u32 v8, vcc_lo, v0, v30
	s_mov_b32 s13, s12
	s_mov_b32 s14, s12
	;; [unrolled: 1-line block ×3, first 2 shown]
	v_and_or_b32 v2, 0xffffff1f, v2, 32
	v_mov_b32_e32 v4, s1
	v_readfirstlane_b32 s10, v0
	v_readfirstlane_b32 s11, v1
	v_mov_b32_e32 v12, s12
	v_add_co_ci_u32_e64 v9, null, 0, v1, vcc_lo
	v_mov_b32_e32 v13, s13
	v_mov_b32_e32 v14, s14
	;; [unrolled: 1-line block ×3, first 2 shown]
	global_store_dwordx4 v30, v[2:5], s[10:11]
	global_store_dwordx4 v30, v[12:15], s[10:11] offset:16
	global_store_dwordx4 v30, v[12:15], s[10:11] offset:32
	;; [unrolled: 1-line block ×3, first 2 shown]
	s_and_saveexec_b32 s1, s0
	s_cbranch_execz .LBB6_366
; %bb.359:
	v_mov_b32_e32 v12, 0
	v_mov_b32_e32 v13, s8
	;; [unrolled: 1-line block ×3, first 2 shown]
	s_clause 0x1
	global_load_dwordx2 v[15:16], v12, s[6:7] offset:32 glc dlc
	global_load_dwordx2 v[0:1], v12, s[6:7] offset:40
	s_waitcnt vmcnt(0)
	v_readfirstlane_b32 s10, v0
	v_readfirstlane_b32 s11, v1
	s_and_b64 s[10:11], s[10:11], s[8:9]
	s_mul_i32 s11, s11, 24
	s_mul_hi_u32 s12, s10, 24
	s_mul_i32 s10, s10, 24
	s_add_i32 s12, s12, s11
	v_add_co_u32 v4, vcc_lo, v6, s10
	v_add_co_ci_u32_e64 v5, null, s12, v7, vcc_lo
	s_mov_b32 s10, exec_lo
	global_store_dwordx2 v[4:5], v[15:16], off
	s_waitcnt_vscnt null, 0x0
	global_atomic_cmpswap_x2 v[2:3], v12, v[13:16], s[6:7] offset:32 glc
	s_waitcnt vmcnt(0)
	v_cmpx_ne_u64_e64 v[2:3], v[15:16]
	s_cbranch_execz .LBB6_362
; %bb.360:
	s_mov_b32 s11, 0
.LBB6_361:                              ; =>This Inner Loop Header: Depth=1
	v_mov_b32_e32 v0, s8
	v_mov_b32_e32 v1, s9
	s_sleep 1
	global_store_dwordx2 v[4:5], v[2:3], off
	s_waitcnt_vscnt null, 0x0
	global_atomic_cmpswap_x2 v[0:1], v12, v[0:3], s[6:7] offset:32 glc
	s_waitcnt vmcnt(0)
	v_cmp_eq_u64_e32 vcc_lo, v[0:1], v[2:3]
	v_mov_b32_e32 v3, v1
	v_mov_b32_e32 v2, v0
	s_or_b32 s11, vcc_lo, s11
	s_andn2_b32 exec_lo, exec_lo, s11
	s_cbranch_execnz .LBB6_361
.LBB6_362:
	s_or_b32 exec_lo, exec_lo, s10
	v_mov_b32_e32 v3, 0
	s_mov_b32 s11, exec_lo
	s_mov_b32 s10, exec_lo
	v_mbcnt_lo_u32_b32 v2, s11, 0
	global_load_dwordx2 v[0:1], v3, s[6:7] offset:16
	v_cmpx_eq_u32_e32 0, v2
	s_cbranch_execz .LBB6_364
; %bb.363:
	s_bcnt1_i32_b32 s11, s11
	v_mov_b32_e32 v2, s11
	s_waitcnt vmcnt(0)
	global_atomic_add_x2 v[0:1], v[2:3], off offset:8
.LBB6_364:
	s_or_b32 exec_lo, exec_lo, s10
	s_waitcnt vmcnt(0)
	global_load_dwordx2 v[2:3], v[0:1], off offset:16
	s_waitcnt vmcnt(0)
	v_cmp_eq_u64_e32 vcc_lo, 0, v[2:3]
	s_cbranch_vccnz .LBB6_366
; %bb.365:
	global_load_dword v0, v[0:1], off offset:24
	v_mov_b32_e32 v1, 0
	s_waitcnt vmcnt(0)
	v_readfirstlane_b32 s10, v0
	s_waitcnt_vscnt null, 0x0
	global_store_dwordx2 v[2:3], v[0:1], off
	s_and_b32 m0, s10, 0x7fffff
	s_sendmsg sendmsg(MSG_INTERRUPT)
.LBB6_366:
	s_or_b32 exec_lo, exec_lo, s1
	s_branch .LBB6_370
	.p2align	6
.LBB6_367:                              ;   in Loop: Header=BB6_370 Depth=1
	s_or_b32 exec_lo, exec_lo, s1
	v_readfirstlane_b32 s1, v0
	s_cmp_eq_u32 s1, 0
	s_cbranch_scc1 .LBB6_369
; %bb.368:                              ;   in Loop: Header=BB6_370 Depth=1
	s_sleep 1
	s_cbranch_execnz .LBB6_370
	s_branch .LBB6_372
	.p2align	6
.LBB6_369:
	s_branch .LBB6_372
.LBB6_370:                              ; =>This Inner Loop Header: Depth=1
	v_mov_b32_e32 v0, 1
	s_and_saveexec_b32 s1, s0
	s_cbranch_execz .LBB6_367
; %bb.371:                              ;   in Loop: Header=BB6_370 Depth=1
	global_load_dword v0, v[10:11], off offset:20 glc dlc
	s_waitcnt vmcnt(0)
	buffer_gl1_inv
	buffer_gl0_inv
	v_and_b32_e32 v0, 1, v0
	s_branch .LBB6_367
.LBB6_372:
	global_load_dwordx2 v[0:1], v[8:9], off
	s_and_saveexec_b32 s10, s0
	s_cbranch_execz .LBB6_376
; %bb.373:
	v_mov_b32_e32 v8, 0
	s_clause 0x2
	global_load_dwordx2 v[2:3], v8, s[6:7] offset:40
	global_load_dwordx2 v[11:12], v8, s[6:7] offset:24 glc dlc
	global_load_dwordx2 v[4:5], v8, s[6:7]
	s_waitcnt vmcnt(2)
	v_readfirstlane_b32 s12, v2
	v_readfirstlane_b32 s13, v3
	s_add_u32 s11, s12, 1
	s_addc_u32 s14, s13, 0
	s_add_u32 s0, s11, s8
	s_addc_u32 s1, s14, s9
	s_cmp_eq_u64 s[0:1], 0
	s_cselect_b32 s1, s14, s1
	s_cselect_b32 s0, s11, s0
	v_mov_b32_e32 v10, s1
	s_and_b64 s[8:9], s[0:1], s[12:13]
	v_mov_b32_e32 v9, s0
	s_mul_i32 s9, s9, 24
	s_mul_hi_u32 s11, s8, 24
	s_mul_i32 s8, s8, 24
	s_add_i32 s11, s11, s9
	s_waitcnt vmcnt(0)
	v_add_co_u32 v6, vcc_lo, v4, s8
	v_add_co_ci_u32_e64 v7, null, s11, v5, vcc_lo
	global_store_dwordx2 v[6:7], v[11:12], off
	s_waitcnt_vscnt null, 0x0
	global_atomic_cmpswap_x2 v[4:5], v8, v[9:12], s[6:7] offset:24 glc
	s_waitcnt vmcnt(0)
	v_cmp_ne_u64_e32 vcc_lo, v[4:5], v[11:12]
	s_and_b32 exec_lo, exec_lo, vcc_lo
	s_cbranch_execz .LBB6_376
; %bb.374:
	s_mov_b32 s8, 0
.LBB6_375:                              ; =>This Inner Loop Header: Depth=1
	v_mov_b32_e32 v2, s0
	v_mov_b32_e32 v3, s1
	s_sleep 1
	global_store_dwordx2 v[6:7], v[4:5], off
	s_waitcnt_vscnt null, 0x0
	global_atomic_cmpswap_x2 v[2:3], v8, v[2:5], s[6:7] offset:24 glc
	s_waitcnt vmcnt(0)
	v_cmp_eq_u64_e32 vcc_lo, v[2:3], v[4:5]
	v_mov_b32_e32 v5, v3
	v_mov_b32_e32 v4, v2
	s_or_b32 s8, vcc_lo, s8
	s_andn2_b32 exec_lo, exec_lo, s8
	s_cbranch_execnz .LBB6_375
.LBB6_376:
	s_or_b32 exec_lo, exec_lo, s10
	v_readfirstlane_b32 s0, v31
	v_mov_b32_e32 v8, 0
	v_mov_b32_e32 v9, 0
	v_cmp_eq_u32_e64 s0, s0, v31
	s_and_saveexec_b32 s1, s0
	s_cbranch_execz .LBB6_382
; %bb.377:
	v_mov_b32_e32 v2, 0
	s_mov_b32 s8, exec_lo
	global_load_dwordx2 v[5:6], v2, s[6:7] offset:24 glc dlc
	s_waitcnt vmcnt(0)
	buffer_gl1_inv
	buffer_gl0_inv
	s_clause 0x1
	global_load_dwordx2 v[3:4], v2, s[6:7] offset:40
	global_load_dwordx2 v[7:8], v2, s[6:7]
	s_waitcnt vmcnt(1)
	v_and_b32_e32 v4, v4, v6
	v_and_b32_e32 v3, v3, v5
	v_mul_lo_u32 v4, v4, 24
	v_mul_hi_u32 v9, v3, 24
	v_mul_lo_u32 v3, v3, 24
	v_add_nc_u32_e32 v4, v9, v4
	s_waitcnt vmcnt(0)
	v_add_co_u32 v3, vcc_lo, v7, v3
	v_add_co_ci_u32_e64 v4, null, v8, v4, vcc_lo
	global_load_dwordx2 v[3:4], v[3:4], off glc dlc
	s_waitcnt vmcnt(0)
	global_atomic_cmpswap_x2 v[8:9], v2, v[3:6], s[6:7] offset:24 glc
	s_waitcnt vmcnt(0)
	buffer_gl1_inv
	buffer_gl0_inv
	v_cmpx_ne_u64_e64 v[8:9], v[5:6]
	s_cbranch_execz .LBB6_381
; %bb.378:
	s_mov_b32 s9, 0
	.p2align	6
.LBB6_379:                              ; =>This Inner Loop Header: Depth=1
	s_sleep 1
	s_clause 0x1
	global_load_dwordx2 v[3:4], v2, s[6:7] offset:40
	global_load_dwordx2 v[10:11], v2, s[6:7]
	v_mov_b32_e32 v5, v8
	v_mov_b32_e32 v6, v9
	s_waitcnt vmcnt(1)
	v_and_b32_e32 v3, v3, v5
	v_and_b32_e32 v4, v4, v6
	s_waitcnt vmcnt(0)
	v_mad_u64_u32 v[7:8], null, v3, 24, v[10:11]
	v_mov_b32_e32 v3, v8
	v_mad_u64_u32 v[3:4], null, v4, 24, v[3:4]
	v_mov_b32_e32 v8, v3
	global_load_dwordx2 v[3:4], v[7:8], off glc dlc
	s_waitcnt vmcnt(0)
	global_atomic_cmpswap_x2 v[8:9], v2, v[3:6], s[6:7] offset:24 glc
	s_waitcnt vmcnt(0)
	buffer_gl1_inv
	buffer_gl0_inv
	v_cmp_eq_u64_e32 vcc_lo, v[8:9], v[5:6]
	s_or_b32 s9, vcc_lo, s9
	s_andn2_b32 exec_lo, exec_lo, s9
	s_cbranch_execnz .LBB6_379
; %bb.380:
	s_or_b32 exec_lo, exec_lo, s9
.LBB6_381:
	s_or_b32 exec_lo, exec_lo, s8
.LBB6_382:
	s_or_b32 exec_lo, exec_lo, s1
	v_mov_b32_e32 v3, 0
	v_readfirstlane_b32 s9, v9
	v_readfirstlane_b32 s8, v8
	s_mov_b32 s1, exec_lo
	s_clause 0x1
	global_load_dwordx2 v[10:11], v3, s[6:7] offset:40
	global_load_dwordx4 v[4:7], v3, s[6:7]
	s_waitcnt vmcnt(1)
	v_readfirstlane_b32 s10, v10
	v_readfirstlane_b32 s11, v11
	s_and_b64 s[10:11], s[10:11], s[8:9]
	s_mul_i32 s12, s11, 24
	s_mul_hi_u32 s13, s10, 24
	s_mul_i32 s14, s10, 24
	s_add_i32 s13, s13, s12
	s_waitcnt vmcnt(0)
	v_add_co_u32 v8, vcc_lo, v4, s14
	v_add_co_ci_u32_e64 v9, null, s13, v5, vcc_lo
	s_and_saveexec_b32 s12, s0
	s_cbranch_execz .LBB6_384
; %bb.383:
	v_mov_b32_e32 v2, s1
	v_mov_b32_e32 v11, v3
	;; [unrolled: 1-line block ×5, first 2 shown]
	global_store_dwordx4 v[8:9], v[10:13], off offset:8
.LBB6_384:
	s_or_b32 exec_lo, exec_lo, s12
	s_lshl_b64 s[10:11], s[10:11], 12
	s_mov_b32 s12, 0
	v_add_co_u32 v6, vcc_lo, v6, s10
	v_add_co_ci_u32_e64 v7, null, s11, v7, vcc_lo
	s_mov_b32 s13, s12
	s_mov_b32 s14, s12
	;; [unrolled: 1-line block ×3, first 2 shown]
	v_and_or_b32 v0, 0xffffff1d, v0, 34
	v_mov_b32_e32 v2, 32
	v_readfirstlane_b32 s10, v6
	v_readfirstlane_b32 s11, v7
	v_mov_b32_e32 v10, s12
	v_mov_b32_e32 v11, s13
	;; [unrolled: 1-line block ×4, first 2 shown]
	global_store_dwordx4 v30, v[0:3], s[10:11]
	global_store_dwordx4 v30, v[10:13], s[10:11] offset:16
	global_store_dwordx4 v30, v[10:13], s[10:11] offset:32
	;; [unrolled: 1-line block ×3, first 2 shown]
	s_and_saveexec_b32 s1, s0
	s_cbranch_execz .LBB6_392
; %bb.385:
	v_mov_b32_e32 v6, 0
	v_mov_b32_e32 v10, s8
	v_mov_b32_e32 v11, s9
	s_clause 0x1
	global_load_dwordx2 v[12:13], v6, s[6:7] offset:32 glc dlc
	global_load_dwordx2 v[0:1], v6, s[6:7] offset:40
	s_waitcnt vmcnt(0)
	v_readfirstlane_b32 s10, v0
	v_readfirstlane_b32 s11, v1
	s_and_b64 s[10:11], s[10:11], s[8:9]
	s_mul_i32 s11, s11, 24
	s_mul_hi_u32 s12, s10, 24
	s_mul_i32 s10, s10, 24
	s_add_i32 s12, s12, s11
	v_add_co_u32 v4, vcc_lo, v4, s10
	v_add_co_ci_u32_e64 v5, null, s12, v5, vcc_lo
	s_mov_b32 s10, exec_lo
	global_store_dwordx2 v[4:5], v[12:13], off
	s_waitcnt_vscnt null, 0x0
	global_atomic_cmpswap_x2 v[2:3], v6, v[10:13], s[6:7] offset:32 glc
	s_waitcnt vmcnt(0)
	v_cmpx_ne_u64_e64 v[2:3], v[12:13]
	s_cbranch_execz .LBB6_388
; %bb.386:
	s_mov_b32 s11, 0
.LBB6_387:                              ; =>This Inner Loop Header: Depth=1
	v_mov_b32_e32 v0, s8
	v_mov_b32_e32 v1, s9
	s_sleep 1
	global_store_dwordx2 v[4:5], v[2:3], off
	s_waitcnt_vscnt null, 0x0
	global_atomic_cmpswap_x2 v[0:1], v6, v[0:3], s[6:7] offset:32 glc
	s_waitcnt vmcnt(0)
	v_cmp_eq_u64_e32 vcc_lo, v[0:1], v[2:3]
	v_mov_b32_e32 v3, v1
	v_mov_b32_e32 v2, v0
	s_or_b32 s11, vcc_lo, s11
	s_andn2_b32 exec_lo, exec_lo, s11
	s_cbranch_execnz .LBB6_387
.LBB6_388:
	s_or_b32 exec_lo, exec_lo, s10
	v_mov_b32_e32 v3, 0
	s_mov_b32 s11, exec_lo
	s_mov_b32 s10, exec_lo
	v_mbcnt_lo_u32_b32 v2, s11, 0
	global_load_dwordx2 v[0:1], v3, s[6:7] offset:16
	v_cmpx_eq_u32_e32 0, v2
	s_cbranch_execz .LBB6_390
; %bb.389:
	s_bcnt1_i32_b32 s11, s11
	v_mov_b32_e32 v2, s11
	s_waitcnt vmcnt(0)
	global_atomic_add_x2 v[0:1], v[2:3], off offset:8
.LBB6_390:
	s_or_b32 exec_lo, exec_lo, s10
	s_waitcnt vmcnt(0)
	global_load_dwordx2 v[2:3], v[0:1], off offset:16
	s_waitcnt vmcnt(0)
	v_cmp_eq_u64_e32 vcc_lo, 0, v[2:3]
	s_cbranch_vccnz .LBB6_392
; %bb.391:
	global_load_dword v0, v[0:1], off offset:24
	v_mov_b32_e32 v1, 0
	s_waitcnt vmcnt(0)
	v_readfirstlane_b32 s10, v0
	s_waitcnt_vscnt null, 0x0
	global_store_dwordx2 v[2:3], v[0:1], off
	s_and_b32 m0, s10, 0x7fffff
	s_sendmsg sendmsg(MSG_INTERRUPT)
.LBB6_392:
	s_or_b32 exec_lo, exec_lo, s1
	s_branch .LBB6_396
	.p2align	6
.LBB6_393:                              ;   in Loop: Header=BB6_396 Depth=1
	s_or_b32 exec_lo, exec_lo, s1
	v_readfirstlane_b32 s1, v0
	s_cmp_eq_u32 s1, 0
	s_cbranch_scc1 .LBB6_395
; %bb.394:                              ;   in Loop: Header=BB6_396 Depth=1
	s_sleep 1
	s_cbranch_execnz .LBB6_396
	s_branch .LBB6_398
	.p2align	6
.LBB6_395:
	s_branch .LBB6_398
.LBB6_396:                              ; =>This Inner Loop Header: Depth=1
	v_mov_b32_e32 v0, 1
	s_and_saveexec_b32 s1, s0
	s_cbranch_execz .LBB6_393
; %bb.397:                              ;   in Loop: Header=BB6_396 Depth=1
	global_load_dword v0, v[8:9], off offset:20 glc dlc
	s_waitcnt vmcnt(0)
	buffer_gl1_inv
	buffer_gl0_inv
	v_and_b32_e32 v0, 1, v0
	s_branch .LBB6_393
.LBB6_398:
	s_and_b32 exec_lo, exec_lo, s0
	s_cbranch_execz .LBB6_402
; %bb.399:
	v_mov_b32_e32 v6, 0
	s_clause 0x2
	global_load_dwordx2 v[0:1], v6, s[6:7] offset:40
	global_load_dwordx2 v[9:10], v6, s[6:7] offset:24 glc dlc
	global_load_dwordx2 v[2:3], v6, s[6:7]
	s_waitcnt vmcnt(2)
	v_readfirstlane_b32 s10, v0
	v_readfirstlane_b32 s11, v1
	s_add_u32 s12, s10, 1
	s_addc_u32 s13, s11, 0
	s_add_u32 s0, s12, s8
	s_addc_u32 s1, s13, s9
	s_cmp_eq_u64 s[0:1], 0
	s_cselect_b32 s1, s13, s1
	s_cselect_b32 s0, s12, s0
	v_mov_b32_e32 v8, s1
	s_and_b64 s[8:9], s[0:1], s[10:11]
	v_mov_b32_e32 v7, s0
	s_mul_i32 s9, s9, 24
	s_mul_hi_u32 s10, s8, 24
	s_mul_i32 s8, s8, 24
	s_add_i32 s10, s10, s9
	s_waitcnt vmcnt(0)
	v_add_co_u32 v4, vcc_lo, v2, s8
	v_add_co_ci_u32_e64 v5, null, s10, v3, vcc_lo
	global_store_dwordx2 v[4:5], v[9:10], off
	s_waitcnt_vscnt null, 0x0
	global_atomic_cmpswap_x2 v[2:3], v6, v[7:10], s[6:7] offset:24 glc
	s_waitcnt vmcnt(0)
	v_cmp_ne_u64_e32 vcc_lo, v[2:3], v[9:10]
	s_and_b32 exec_lo, exec_lo, vcc_lo
	s_cbranch_execz .LBB6_402
; %bb.400:
	s_mov_b32 s8, 0
.LBB6_401:                              ; =>This Inner Loop Header: Depth=1
	v_mov_b32_e32 v0, s0
	v_mov_b32_e32 v1, s1
	s_sleep 1
	global_store_dwordx2 v[4:5], v[2:3], off
	s_waitcnt_vscnt null, 0x0
	global_atomic_cmpswap_x2 v[0:1], v6, v[0:3], s[6:7] offset:24 glc
	s_waitcnt vmcnt(0)
	v_cmp_eq_u64_e32 vcc_lo, v[0:1], v[2:3]
	v_mov_b32_e32 v3, v1
	v_mov_b32_e32 v2, v0
	s_or_b32 s8, vcc_lo, s8
	s_andn2_b32 exec_lo, exec_lo, s8
	s_cbranch_execnz .LBB6_401
.LBB6_402:
	s_or_b32 exec_lo, exec_lo, s23
	v_and_b32_e32 v0, 0xffffffe0, v26
	v_and_b32_e32 v4, 31, v26
	s_mov_b32 s0, exec_lo
	s_waitcnt lgkmcnt(0)
	s_waitcnt_vscnt null, 0x0
	s_barrier
	v_ashrrev_i32_e32 v1, 31, v0
	v_lshlrev_b32_e32 v2, 2, v4
	buffer_gl0_inv
	v_lshlrev_b64 v[0:1], 2, v[0:1]
	v_add_co_u32 v0, vcc_lo, s22, v0
	v_add_co_ci_u32_e64 v1, null, s21, v1, vcc_lo
	v_add_co_u32 v2, vcc_lo, v0, v2
	v_add_co_ci_u32_e64 v3, null, 0, v1, vcc_lo
	flat_store_dword v[2:3], v26
	s_waitcnt lgkmcnt(0)
	s_waitcnt_vscnt null, 0x0
	buffer_gl1_inv
	buffer_gl0_inv
	v_cmpx_gt_u32_e32 16, v4
	s_cbranch_execz .LBB6_404
; %bb.403:
	flat_load_dword v5, v[2:3] offset:64
	s_waitcnt vmcnt(0) lgkmcnt(0)
	v_add_nc_u32_e32 v29, v5, v26
.LBB6_404:
	s_or_b32 exec_lo, exec_lo, s0
	s_mov_b32 s0, exec_lo
	buffer_gl1_inv
	buffer_gl0_inv
	flat_store_dword v[2:3], v29
	s_waitcnt lgkmcnt(0)
	s_waitcnt_vscnt null, 0x0
	buffer_gl1_inv
	buffer_gl0_inv
	v_cmpx_gt_u32_e32 8, v4
	s_cbranch_execz .LBB6_406
; %bb.405:
	flat_load_dword v5, v[2:3] offset:32
	s_waitcnt vmcnt(0) lgkmcnt(0)
	v_add_nc_u32_e32 v29, v5, v29
.LBB6_406:
	s_or_b32 exec_lo, exec_lo, s0
	s_mov_b32 s0, exec_lo
	buffer_gl1_inv
	buffer_gl0_inv
	;; [unrolled: 16-line block ×3, first 2 shown]
	flat_store_dword v[2:3], v29
	s_waitcnt lgkmcnt(0)
	s_waitcnt_vscnt null, 0x0
	buffer_gl1_inv
	buffer_gl0_inv
	v_cmpx_gt_u32_e32 2, v4
	s_cbranch_execz .LBB6_410
; %bb.409:
	flat_load_dword v5, v[2:3] offset:8
	s_waitcnt vmcnt(0) lgkmcnt(0)
	v_add_nc_u32_e32 v29, v5, v29
.LBB6_410:
	s_or_b32 exec_lo, exec_lo, s0
	v_cmp_eq_u32_e64 s0, 0, v4
	buffer_gl1_inv
	buffer_gl0_inv
	flat_store_dword v[2:3], v29
	s_waitcnt lgkmcnt(0)
	s_waitcnt_vscnt null, 0x0
	buffer_gl1_inv
	buffer_gl0_inv
	s_and_saveexec_b32 s1, s0
	s_cbranch_execnz .LBB6_413
; %bb.411:
	s_or_b32 exec_lo, exec_lo, s1
	buffer_gl1_inv
	buffer_gl0_inv
	s_and_saveexec_b32 s1, s0
	s_cbranch_execnz .LBB6_414
.LBB6_412:
	s_endpgm
.LBB6_413:
	flat_load_dword v0, v[0:1] offset:4
	s_waitcnt vmcnt(0) lgkmcnt(0)
	v_add_nc_u32_e32 v29, v0, v29
	s_or_b32 exec_lo, exec_lo, s1
	buffer_gl1_inv
	buffer_gl0_inv
	s_and_saveexec_b32 s1, s0
	s_cbranch_execz .LBB6_412
.LBB6_414:
	s_load_dwordx2 s[2:3], s[2:3], 0x50
	v_mbcnt_lo_u32_b32 v31, -1, 0
	v_mov_b32_e32 v6, 0
	v_mov_b32_e32 v7, 0
	v_readfirstlane_b32 s1, v31
	v_cmp_eq_u32_e64 s1, s1, v31
	s_and_saveexec_b32 s6, s1
	s_cbranch_execz .LBB6_420
; %bb.415:
	v_mov_b32_e32 v0, 0
	s_mov_b32 s7, exec_lo
	s_waitcnt lgkmcnt(0)
	global_load_dwordx2 v[3:4], v0, s[2:3] offset:24 glc dlc
	s_waitcnt vmcnt(0)
	buffer_gl1_inv
	buffer_gl0_inv
	s_clause 0x1
	global_load_dwordx2 v[1:2], v0, s[2:3] offset:40
	global_load_dwordx2 v[5:6], v0, s[2:3]
	s_waitcnt vmcnt(1)
	v_and_b32_e32 v2, v2, v4
	v_and_b32_e32 v1, v1, v3
	v_mul_lo_u32 v2, v2, 24
	v_mul_hi_u32 v7, v1, 24
	v_mul_lo_u32 v1, v1, 24
	v_add_nc_u32_e32 v2, v7, v2
	s_waitcnt vmcnt(0)
	v_add_co_u32 v1, vcc_lo, v5, v1
	v_add_co_ci_u32_e64 v2, null, v6, v2, vcc_lo
	global_load_dwordx2 v[1:2], v[1:2], off glc dlc
	s_waitcnt vmcnt(0)
	global_atomic_cmpswap_x2 v[6:7], v0, v[1:4], s[2:3] offset:24 glc
	s_waitcnt vmcnt(0)
	buffer_gl1_inv
	buffer_gl0_inv
	v_cmpx_ne_u64_e64 v[6:7], v[3:4]
	s_cbranch_execz .LBB6_419
; %bb.416:
	s_mov_b32 s8, 0
	.p2align	6
.LBB6_417:                              ; =>This Inner Loop Header: Depth=1
	s_sleep 1
	s_clause 0x1
	global_load_dwordx2 v[1:2], v0, s[2:3] offset:40
	global_load_dwordx2 v[8:9], v0, s[2:3]
	v_mov_b32_e32 v3, v6
	v_mov_b32_e32 v4, v7
	s_waitcnt vmcnt(1)
	v_and_b32_e32 v1, v1, v3
	v_and_b32_e32 v2, v2, v4
	s_waitcnt vmcnt(0)
	v_mad_u64_u32 v[5:6], null, v1, 24, v[8:9]
	v_mov_b32_e32 v1, v6
	v_mad_u64_u32 v[1:2], null, v2, 24, v[1:2]
	v_mov_b32_e32 v6, v1
	global_load_dwordx2 v[1:2], v[5:6], off glc dlc
	s_waitcnt vmcnt(0)
	global_atomic_cmpswap_x2 v[6:7], v0, v[1:4], s[2:3] offset:24 glc
	s_waitcnt vmcnt(0)
	buffer_gl1_inv
	buffer_gl0_inv
	v_cmp_eq_u64_e32 vcc_lo, v[6:7], v[3:4]
	s_or_b32 s8, vcc_lo, s8
	s_andn2_b32 exec_lo, exec_lo, s8
	s_cbranch_execnz .LBB6_417
; %bb.418:
	s_or_b32 exec_lo, exec_lo, s8
.LBB6_419:
	s_or_b32 exec_lo, exec_lo, s7
.LBB6_420:
	s_or_b32 exec_lo, exec_lo, s6
	v_mov_b32_e32 v5, 0
	v_readfirstlane_b32 s7, v7
	v_readfirstlane_b32 s6, v6
	s_mov_b32 s10, exec_lo
	s_waitcnt lgkmcnt(0)
	s_clause 0x1
	global_load_dwordx2 v[8:9], v5, s[2:3] offset:40
	global_load_dwordx4 v[0:3], v5, s[2:3]
	s_waitcnt vmcnt(1)
	v_readfirstlane_b32 s8, v8
	v_readfirstlane_b32 s9, v9
	s_and_b64 s[8:9], s[8:9], s[6:7]
	s_mul_i32 s11, s9, 24
	s_mul_hi_u32 s12, s8, 24
	s_mul_i32 s13, s8, 24
	s_add_i32 s12, s12, s11
	s_waitcnt vmcnt(0)
	v_add_co_u32 v8, vcc_lo, v0, s13
	v_add_co_ci_u32_e64 v9, null, s12, v1, vcc_lo
	s_and_saveexec_b32 s11, s1
	s_cbranch_execz .LBB6_422
; %bb.421:
	v_mov_b32_e32 v4, s10
	v_mov_b32_e32 v6, 2
	;; [unrolled: 1-line block ×3, first 2 shown]
	global_store_dwordx4 v[8:9], v[4:7], off offset:8
.LBB6_422:
	s_or_b32 exec_lo, exec_lo, s11
	s_lshl_b64 s[8:9], s[8:9], 12
	v_lshlrev_b32_e32 v30, 6, v31
	v_add_co_u32 v2, vcc_lo, v2, s8
	v_add_co_ci_u32_e64 v3, null, s9, v3, vcc_lo
	s_mov_b32 s8, 0
	v_add_co_u32 v10, vcc_lo, v2, v30
	s_mov_b32 s11, s8
	s_mov_b32 s9, s8
	;; [unrolled: 1-line block ×3, first 2 shown]
	v_mov_b32_e32 v4, 33
	v_mov_b32_e32 v6, v5
	;; [unrolled: 1-line block ×3, first 2 shown]
	v_readfirstlane_b32 s12, v2
	v_readfirstlane_b32 s13, v3
	v_mov_b32_e32 v15, s11
	v_add_co_ci_u32_e64 v11, null, 0, v3, vcc_lo
	v_mov_b32_e32 v14, s10
	v_mov_b32_e32 v13, s9
	;; [unrolled: 1-line block ×3, first 2 shown]
	global_store_dwordx4 v30, v[4:7], s[12:13]
	global_store_dwordx4 v30, v[12:15], s[12:13] offset:16
	global_store_dwordx4 v30, v[12:15], s[12:13] offset:32
	;; [unrolled: 1-line block ×3, first 2 shown]
	s_and_saveexec_b32 s8, s1
	s_cbranch_execz .LBB6_430
; %bb.423:
	v_mov_b32_e32 v6, 0
	v_mov_b32_e32 v12, s6
	;; [unrolled: 1-line block ×3, first 2 shown]
	s_mov_b32 s9, exec_lo
	s_clause 0x1
	global_load_dwordx2 v[14:15], v6, s[2:3] offset:32 glc dlc
	global_load_dwordx2 v[2:3], v6, s[2:3] offset:40
	s_waitcnt vmcnt(0)
	v_and_b32_e32 v3, s7, v3
	v_and_b32_e32 v2, s6, v2
	v_mul_lo_u32 v3, v3, 24
	v_mul_hi_u32 v4, v2, 24
	v_mul_lo_u32 v2, v2, 24
	v_add_nc_u32_e32 v3, v4, v3
	v_add_co_u32 v4, vcc_lo, v0, v2
	v_add_co_ci_u32_e64 v5, null, v1, v3, vcc_lo
	global_store_dwordx2 v[4:5], v[14:15], off
	s_waitcnt_vscnt null, 0x0
	global_atomic_cmpswap_x2 v[2:3], v6, v[12:15], s[2:3] offset:32 glc
	s_waitcnt vmcnt(0)
	v_cmpx_ne_u64_e64 v[2:3], v[14:15]
	s_cbranch_execz .LBB6_426
; %bb.424:
	s_mov_b32 s10, 0
.LBB6_425:                              ; =>This Inner Loop Header: Depth=1
	v_mov_b32_e32 v0, s6
	v_mov_b32_e32 v1, s7
	s_sleep 1
	global_store_dwordx2 v[4:5], v[2:3], off
	s_waitcnt_vscnt null, 0x0
	global_atomic_cmpswap_x2 v[0:1], v6, v[0:3], s[2:3] offset:32 glc
	s_waitcnt vmcnt(0)
	v_cmp_eq_u64_e32 vcc_lo, v[0:1], v[2:3]
	v_mov_b32_e32 v3, v1
	v_mov_b32_e32 v2, v0
	s_or_b32 s10, vcc_lo, s10
	s_andn2_b32 exec_lo, exec_lo, s10
	s_cbranch_execnz .LBB6_425
.LBB6_426:
	s_or_b32 exec_lo, exec_lo, s9
	v_mov_b32_e32 v3, 0
	s_mov_b32 s10, exec_lo
	s_mov_b32 s9, exec_lo
	v_mbcnt_lo_u32_b32 v2, s10, 0
	global_load_dwordx2 v[0:1], v3, s[2:3] offset:16
	v_cmpx_eq_u32_e32 0, v2
	s_cbranch_execz .LBB6_428
; %bb.427:
	s_bcnt1_i32_b32 s10, s10
	v_mov_b32_e32 v2, s10
	s_waitcnt vmcnt(0)
	global_atomic_add_x2 v[0:1], v[2:3], off offset:8
.LBB6_428:
	s_or_b32 exec_lo, exec_lo, s9
	s_waitcnt vmcnt(0)
	global_load_dwordx2 v[2:3], v[0:1], off offset:16
	s_waitcnt vmcnt(0)
	v_cmp_eq_u64_e32 vcc_lo, 0, v[2:3]
	s_cbranch_vccnz .LBB6_430
; %bb.429:
	global_load_dword v0, v[0:1], off offset:24
	v_mov_b32_e32 v1, 0
	s_waitcnt vmcnt(0)
	v_readfirstlane_b32 s9, v0
	s_waitcnt_vscnt null, 0x0
	global_store_dwordx2 v[2:3], v[0:1], off
	s_and_b32 m0, s9, 0x7fffff
	s_sendmsg sendmsg(MSG_INTERRUPT)
.LBB6_430:
	s_or_b32 exec_lo, exec_lo, s8
	s_branch .LBB6_434
	.p2align	6
.LBB6_431:                              ;   in Loop: Header=BB6_434 Depth=1
	s_or_b32 exec_lo, exec_lo, s8
	v_readfirstlane_b32 s8, v0
	s_cmp_eq_u32 s8, 0
	s_cbranch_scc1 .LBB6_433
; %bb.432:                              ;   in Loop: Header=BB6_434 Depth=1
	s_sleep 1
	s_cbranch_execnz .LBB6_434
	s_branch .LBB6_436
	.p2align	6
.LBB6_433:
	s_branch .LBB6_436
.LBB6_434:                              ; =>This Inner Loop Header: Depth=1
	v_mov_b32_e32 v0, 1
	s_and_saveexec_b32 s8, s1
	s_cbranch_execz .LBB6_431
; %bb.435:                              ;   in Loop: Header=BB6_434 Depth=1
	global_load_dword v0, v[8:9], off offset:20 glc dlc
	s_waitcnt vmcnt(0)
	buffer_gl1_inv
	buffer_gl0_inv
	v_and_b32_e32 v0, 1, v0
	s_branch .LBB6_431
.LBB6_436:
	global_load_dwordx2 v[0:1], v[10:11], off
	s_and_saveexec_b32 s8, s1
	s_cbranch_execz .LBB6_440
; %bb.437:
	v_mov_b32_e32 v8, 0
	s_clause 0x2
	global_load_dwordx2 v[2:3], v8, s[2:3] offset:40
	global_load_dwordx2 v[11:12], v8, s[2:3] offset:24 glc dlc
	global_load_dwordx2 v[4:5], v8, s[2:3]
	s_waitcnt vmcnt(2)
	v_readfirstlane_b32 s10, v2
	v_readfirstlane_b32 s11, v3
	s_add_u32 s1, s10, 1
	s_addc_u32 s9, s11, 0
	s_add_u32 s6, s1, s6
	s_addc_u32 s7, s9, s7
	s_cmp_eq_u64 s[6:7], 0
	s_cselect_b32 s7, s9, s7
	s_cselect_b32 s6, s1, s6
	v_mov_b32_e32 v10, s7
	s_and_b64 s[10:11], s[6:7], s[10:11]
	v_mov_b32_e32 v9, s6
	s_mul_i32 s1, s11, 24
	s_mul_hi_u32 s9, s10, 24
	s_mul_i32 s10, s10, 24
	s_add_i32 s9, s9, s1
	s_waitcnt vmcnt(0)
	v_add_co_u32 v6, vcc_lo, v4, s10
	v_add_co_ci_u32_e64 v7, null, s9, v5, vcc_lo
	global_store_dwordx2 v[6:7], v[11:12], off
	s_waitcnt_vscnt null, 0x0
	global_atomic_cmpswap_x2 v[4:5], v8, v[9:12], s[2:3] offset:24 glc
	s_waitcnt vmcnt(0)
	v_cmp_ne_u64_e32 vcc_lo, v[4:5], v[11:12]
	s_and_b32 exec_lo, exec_lo, vcc_lo
	s_cbranch_execz .LBB6_440
; %bb.438:
	s_mov_b32 s1, 0
.LBB6_439:                              ; =>This Inner Loop Header: Depth=1
	v_mov_b32_e32 v2, s6
	v_mov_b32_e32 v3, s7
	s_sleep 1
	global_store_dwordx2 v[6:7], v[4:5], off
	s_waitcnt_vscnt null, 0x0
	global_atomic_cmpswap_x2 v[2:3], v8, v[2:5], s[2:3] offset:24 glc
	s_waitcnt vmcnt(0)
	v_cmp_eq_u64_e32 vcc_lo, v[2:3], v[4:5]
	v_mov_b32_e32 v5, v3
	v_mov_b32_e32 v4, v2
	s_or_b32 s1, vcc_lo, s1
	s_andn2_b32 exec_lo, exec_lo, s1
	s_cbranch_execnz .LBB6_439
.LBB6_440:
	s_or_b32 exec_lo, exec_lo, s8
	s_getpc_b64 s[6:7]
	s_add_u32 s6, s6, .str.9@rel32@lo+4
	s_addc_u32 s7, s7, .str.9@rel32@hi+12
	s_cmp_lg_u64 s[6:7], 0
	s_cselect_b32 s1, -1, 0
	s_cmp_eq_u64 s[6:7], 0
	s_mov_b64 s[6:7], 0
	s_cbranch_scc1 .LBB6_444
; %bb.441:
	v_mov_b32_e32 v2, 0
	s_getpc_b64 s[6:7]
	s_add_u32 s6, s6, .str.9@rel32@lo+3
	s_addc_u32 s7, s7, .str.9@rel32@hi+11
.LBB6_442:                              ; =>This Inner Loop Header: Depth=1
	global_load_ubyte v3, v2, s[6:7] offset:1
	s_add_u32 s8, s6, 1
	s_addc_u32 s9, s7, 0
	s_mov_b64 s[6:7], s[8:9]
	s_waitcnt vmcnt(0)
	v_cmp_ne_u32_e32 vcc_lo, 0, v3
	s_cbranch_vccnz .LBB6_442
; %bb.443:
	s_getpc_b64 s[6:7]
	s_add_u32 s6, s6, .str.9@rel32@lo+4
	s_addc_u32 s7, s7, .str.9@rel32@hi+12
	s_sub_u32 s6, s8, s6
	s_subb_u32 s7, s9, s7
	s_add_u32 s6, s6, 1
	s_addc_u32 s7, s7, 0
.LBB6_444:
	s_and_b32 vcc_lo, exec_lo, s1
	s_cbranch_vccz .LBB6_523
; %bb.445:
	s_waitcnt vmcnt(0)
	v_and_b32_e32 v32, 2, v0
	v_mov_b32_e32 v7, 0
	v_and_b32_e32 v2, -3, v0
	v_mov_b32_e32 v3, v1
	v_mov_b32_e32 v8, 2
	;; [unrolled: 1-line block ×3, first 2 shown]
	s_getpc_b64 s[8:9]
	s_add_u32 s8, s8, .str.9@rel32@lo+4
	s_addc_u32 s9, s9, .str.9@rel32@hi+12
	s_branch .LBB6_447
.LBB6_446:                              ;   in Loop: Header=BB6_447 Depth=1
	s_or_b32 exec_lo, exec_lo, s14
	s_sub_u32 s6, s6, s10
	s_subb_u32 s7, s7, s11
	s_add_u32 s8, s8, s10
	s_addc_u32 s9, s9, s11
	s_cmp_lg_u64 s[6:7], 0
	s_cbranch_scc0 .LBB6_522
.LBB6_447:                              ; =>This Loop Header: Depth=1
                                        ;     Child Loop BB6_450 Depth 2
                                        ;     Child Loop BB6_457 Depth 2
	;; [unrolled: 1-line block ×11, first 2 shown]
	v_cmp_lt_u64_e64 s1, s[6:7], 56
	v_cmp_gt_u64_e64 s14, s[6:7], 7
	s_and_b32 s1, s1, exec_lo
	s_cselect_b32 s11, s7, 0
	s_cselect_b32 s10, s6, 56
	s_add_u32 s12, s8, 8
	s_addc_u32 s13, s9, 0
	s_and_b32 vcc_lo, exec_lo, s14
	s_cbranch_vccnz .LBB6_452
; %bb.448:                              ;   in Loop: Header=BB6_447 Depth=1
	v_mov_b32_e32 v4, 0
	v_mov_b32_e32 v5, 0
	s_cmp_eq_u64 s[6:7], 0
	s_cbranch_scc1 .LBB6_451
; %bb.449:                              ;   in Loop: Header=BB6_447 Depth=1
	s_lshl_b64 s[12:13], s[10:11], 3
	s_mov_b64 s[14:15], 0
	s_mov_b64 s[16:17], s[8:9]
.LBB6_450:                              ;   Parent Loop BB6_447 Depth=1
                                        ; =>  This Inner Loop Header: Depth=2
	global_load_ubyte v6, v7, s[16:17]
	s_waitcnt vmcnt(0)
	v_and_b32_e32 v6, 0xffff, v6
	v_lshlrev_b64 v[10:11], s14, v[6:7]
	s_add_u32 s14, s14, 8
	s_addc_u32 s15, s15, 0
	s_add_u32 s16, s16, 1
	s_addc_u32 s17, s17, 0
	s_cmp_lg_u32 s12, s14
	v_or_b32_e32 v4, v10, v4
	v_or_b32_e32 v5, v11, v5
	s_cbranch_scc1 .LBB6_450
.LBB6_451:                              ;   in Loop: Header=BB6_447 Depth=1
	s_mov_b64 s[12:13], s[8:9]
	s_mov_b32 s1, 0
	s_cbranch_execz .LBB6_453
	s_branch .LBB6_454
.LBB6_452:                              ;   in Loop: Header=BB6_447 Depth=1
	s_mov_b32 s1, 0
.LBB6_453:                              ;   in Loop: Header=BB6_447 Depth=1
	global_load_dwordx2 v[4:5], v7, s[8:9]
	s_add_i32 s1, s10, -8
.LBB6_454:                              ;   in Loop: Header=BB6_447 Depth=1
	s_add_u32 s14, s12, 8
	s_addc_u32 s15, s13, 0
	s_cmp_gt_u32 s1, 7
	s_cbranch_scc1 .LBB6_459
; %bb.455:                              ;   in Loop: Header=BB6_447 Depth=1
	v_mov_b32_e32 v10, 0
	v_mov_b32_e32 v11, 0
	s_cmp_eq_u32 s1, 0
	s_cbranch_scc1 .LBB6_458
; %bb.456:                              ;   in Loop: Header=BB6_447 Depth=1
	s_mov_b64 s[14:15], 0
	s_mov_b64 s[16:17], 0
.LBB6_457:                              ;   Parent Loop BB6_447 Depth=1
                                        ; =>  This Inner Loop Header: Depth=2
	s_add_u32 s18, s12, s16
	s_addc_u32 s19, s13, s17
	s_add_u32 s16, s16, 1
	global_load_ubyte v6, v7, s[18:19]
	s_addc_u32 s17, s17, 0
	s_waitcnt vmcnt(0)
	v_and_b32_e32 v6, 0xffff, v6
	v_lshlrev_b64 v[12:13], s14, v[6:7]
	s_add_u32 s14, s14, 8
	s_addc_u32 s15, s15, 0
	s_cmp_lg_u32 s1, s16
	v_or_b32_e32 v10, v12, v10
	v_or_b32_e32 v11, v13, v11
	s_cbranch_scc1 .LBB6_457
.LBB6_458:                              ;   in Loop: Header=BB6_447 Depth=1
	s_mov_b64 s[14:15], s[12:13]
	s_mov_b32 s18, 0
	s_cbranch_execz .LBB6_460
	s_branch .LBB6_461
.LBB6_459:                              ;   in Loop: Header=BB6_447 Depth=1
                                        ; implicit-def: $vgpr10_vgpr11
	s_mov_b32 s18, 0
.LBB6_460:                              ;   in Loop: Header=BB6_447 Depth=1
	global_load_dwordx2 v[10:11], v7, s[12:13]
	s_add_i32 s18, s1, -8
.LBB6_461:                              ;   in Loop: Header=BB6_447 Depth=1
	s_add_u32 s12, s14, 8
	s_addc_u32 s13, s15, 0
	s_cmp_gt_u32 s18, 7
	s_cbranch_scc1 .LBB6_466
; %bb.462:                              ;   in Loop: Header=BB6_447 Depth=1
	v_mov_b32_e32 v12, 0
	v_mov_b32_e32 v13, 0
	s_cmp_eq_u32 s18, 0
	s_cbranch_scc1 .LBB6_465
; %bb.463:                              ;   in Loop: Header=BB6_447 Depth=1
	s_mov_b64 s[12:13], 0
	s_mov_b64 s[16:17], 0
.LBB6_464:                              ;   Parent Loop BB6_447 Depth=1
                                        ; =>  This Inner Loop Header: Depth=2
	s_add_u32 s22, s14, s16
	s_addc_u32 s23, s15, s17
	s_add_u32 s16, s16, 1
	global_load_ubyte v6, v7, s[22:23]
	s_addc_u32 s17, s17, 0
	s_waitcnt vmcnt(0)
	v_and_b32_e32 v6, 0xffff, v6
	v_lshlrev_b64 v[14:15], s12, v[6:7]
	s_add_u32 s12, s12, 8
	s_addc_u32 s13, s13, 0
	s_cmp_lg_u32 s18, s16
	v_or_b32_e32 v12, v14, v12
	v_or_b32_e32 v13, v15, v13
	s_cbranch_scc1 .LBB6_464
.LBB6_465:                              ;   in Loop: Header=BB6_447 Depth=1
	s_mov_b64 s[12:13], s[14:15]
	s_mov_b32 s1, 0
	s_cbranch_execz .LBB6_467
	s_branch .LBB6_468
.LBB6_466:                              ;   in Loop: Header=BB6_447 Depth=1
	s_mov_b32 s1, 0
.LBB6_467:                              ;   in Loop: Header=BB6_447 Depth=1
	global_load_dwordx2 v[12:13], v7, s[14:15]
	s_add_i32 s1, s18, -8
.LBB6_468:                              ;   in Loop: Header=BB6_447 Depth=1
	s_add_u32 s14, s12, 8
	s_addc_u32 s15, s13, 0
	s_cmp_gt_u32 s1, 7
	s_cbranch_scc1 .LBB6_473
; %bb.469:                              ;   in Loop: Header=BB6_447 Depth=1
	v_mov_b32_e32 v14, 0
	v_mov_b32_e32 v15, 0
	s_cmp_eq_u32 s1, 0
	s_cbranch_scc1 .LBB6_472
; %bb.470:                              ;   in Loop: Header=BB6_447 Depth=1
	s_mov_b64 s[14:15], 0
	s_mov_b64 s[16:17], 0
.LBB6_471:                              ;   Parent Loop BB6_447 Depth=1
                                        ; =>  This Inner Loop Header: Depth=2
	s_add_u32 s18, s12, s16
	s_addc_u32 s19, s13, s17
	s_add_u32 s16, s16, 1
	global_load_ubyte v6, v7, s[18:19]
	s_addc_u32 s17, s17, 0
	s_waitcnt vmcnt(0)
	v_and_b32_e32 v6, 0xffff, v6
	v_lshlrev_b64 v[16:17], s14, v[6:7]
	s_add_u32 s14, s14, 8
	s_addc_u32 s15, s15, 0
	s_cmp_lg_u32 s1, s16
	v_or_b32_e32 v14, v16, v14
	v_or_b32_e32 v15, v17, v15
	s_cbranch_scc1 .LBB6_471
.LBB6_472:                              ;   in Loop: Header=BB6_447 Depth=1
	s_mov_b64 s[14:15], s[12:13]
	s_mov_b32 s18, 0
	s_cbranch_execz .LBB6_474
	s_branch .LBB6_475
.LBB6_473:                              ;   in Loop: Header=BB6_447 Depth=1
                                        ; implicit-def: $vgpr14_vgpr15
	s_mov_b32 s18, 0
.LBB6_474:                              ;   in Loop: Header=BB6_447 Depth=1
	global_load_dwordx2 v[14:15], v7, s[12:13]
	s_add_i32 s18, s1, -8
.LBB6_475:                              ;   in Loop: Header=BB6_447 Depth=1
	s_add_u32 s12, s14, 8
	s_addc_u32 s13, s15, 0
	s_cmp_gt_u32 s18, 7
	s_cbranch_scc1 .LBB6_480
; %bb.476:                              ;   in Loop: Header=BB6_447 Depth=1
	v_mov_b32_e32 v16, 0
	v_mov_b32_e32 v17, 0
	s_cmp_eq_u32 s18, 0
	s_cbranch_scc1 .LBB6_479
; %bb.477:                              ;   in Loop: Header=BB6_447 Depth=1
	s_mov_b64 s[12:13], 0
	s_mov_b64 s[16:17], 0
.LBB6_478:                              ;   Parent Loop BB6_447 Depth=1
                                        ; =>  This Inner Loop Header: Depth=2
	s_add_u32 s22, s14, s16
	s_addc_u32 s23, s15, s17
	s_add_u32 s16, s16, 1
	global_load_ubyte v6, v7, s[22:23]
	s_addc_u32 s17, s17, 0
	s_waitcnt vmcnt(0)
	v_and_b32_e32 v6, 0xffff, v6
	v_lshlrev_b64 v[18:19], s12, v[6:7]
	s_add_u32 s12, s12, 8
	s_addc_u32 s13, s13, 0
	s_cmp_lg_u32 s18, s16
	v_or_b32_e32 v16, v18, v16
	v_or_b32_e32 v17, v19, v17
	s_cbranch_scc1 .LBB6_478
.LBB6_479:                              ;   in Loop: Header=BB6_447 Depth=1
	s_mov_b64 s[12:13], s[14:15]
	s_mov_b32 s1, 0
	s_cbranch_execz .LBB6_481
	s_branch .LBB6_482
.LBB6_480:                              ;   in Loop: Header=BB6_447 Depth=1
	s_mov_b32 s1, 0
.LBB6_481:                              ;   in Loop: Header=BB6_447 Depth=1
	global_load_dwordx2 v[16:17], v7, s[14:15]
	s_add_i32 s1, s18, -8
.LBB6_482:                              ;   in Loop: Header=BB6_447 Depth=1
	s_add_u32 s14, s12, 8
	s_addc_u32 s15, s13, 0
	s_cmp_gt_u32 s1, 7
	s_cbranch_scc1 .LBB6_487
; %bb.483:                              ;   in Loop: Header=BB6_447 Depth=1
	v_mov_b32_e32 v18, 0
	v_mov_b32_e32 v19, 0
	s_cmp_eq_u32 s1, 0
	s_cbranch_scc1 .LBB6_486
; %bb.484:                              ;   in Loop: Header=BB6_447 Depth=1
	s_mov_b64 s[14:15], 0
	s_mov_b64 s[16:17], 0
.LBB6_485:                              ;   Parent Loop BB6_447 Depth=1
                                        ; =>  This Inner Loop Header: Depth=2
	s_add_u32 s18, s12, s16
	s_addc_u32 s19, s13, s17
	s_add_u32 s16, s16, 1
	global_load_ubyte v6, v7, s[18:19]
	s_addc_u32 s17, s17, 0
	s_waitcnt vmcnt(0)
	v_and_b32_e32 v6, 0xffff, v6
	v_lshlrev_b64 v[20:21], s14, v[6:7]
	s_add_u32 s14, s14, 8
	s_addc_u32 s15, s15, 0
	s_cmp_lg_u32 s1, s16
	v_or_b32_e32 v18, v20, v18
	v_or_b32_e32 v19, v21, v19
	s_cbranch_scc1 .LBB6_485
.LBB6_486:                              ;   in Loop: Header=BB6_447 Depth=1
	s_mov_b64 s[14:15], s[12:13]
	s_mov_b32 s18, 0
	s_cbranch_execz .LBB6_488
	s_branch .LBB6_489
.LBB6_487:                              ;   in Loop: Header=BB6_447 Depth=1
                                        ; implicit-def: $vgpr18_vgpr19
	s_mov_b32 s18, 0
.LBB6_488:                              ;   in Loop: Header=BB6_447 Depth=1
	global_load_dwordx2 v[18:19], v7, s[12:13]
	s_add_i32 s18, s1, -8
.LBB6_489:                              ;   in Loop: Header=BB6_447 Depth=1
	s_cmp_gt_u32 s18, 7
	s_cbranch_scc1 .LBB6_494
; %bb.490:                              ;   in Loop: Header=BB6_447 Depth=1
	v_mov_b32_e32 v20, 0
	v_mov_b32_e32 v21, 0
	s_cmp_eq_u32 s18, 0
	s_cbranch_scc1 .LBB6_493
; %bb.491:                              ;   in Loop: Header=BB6_447 Depth=1
	s_mov_b64 s[12:13], 0
	s_mov_b64 s[16:17], s[14:15]
.LBB6_492:                              ;   Parent Loop BB6_447 Depth=1
                                        ; =>  This Inner Loop Header: Depth=2
	global_load_ubyte v6, v7, s[16:17]
	s_add_i32 s18, s18, -1
	s_waitcnt vmcnt(0)
	v_and_b32_e32 v6, 0xffff, v6
	v_lshlrev_b64 v[22:23], s12, v[6:7]
	s_add_u32 s12, s12, 8
	s_addc_u32 s13, s13, 0
	s_add_u32 s16, s16, 1
	s_addc_u32 s17, s17, 0
	s_cmp_lg_u32 s18, 0
	v_or_b32_e32 v20, v22, v20
	v_or_b32_e32 v21, v23, v21
	s_cbranch_scc1 .LBB6_492
.LBB6_493:                              ;   in Loop: Header=BB6_447 Depth=1
	s_cbranch_execz .LBB6_495
	s_branch .LBB6_496
.LBB6_494:                              ;   in Loop: Header=BB6_447 Depth=1
.LBB6_495:                              ;   in Loop: Header=BB6_447 Depth=1
	global_load_dwordx2 v[20:21], v7, s[14:15]
.LBB6_496:                              ;   in Loop: Header=BB6_447 Depth=1
	v_readfirstlane_b32 s1, v31
	v_mov_b32_e32 v27, 0
	v_mov_b32_e32 v28, 0
	v_cmp_eq_u32_e64 s1, s1, v31
	s_and_saveexec_b32 s12, s1
	s_cbranch_execz .LBB6_502
; %bb.497:                              ;   in Loop: Header=BB6_447 Depth=1
	global_load_dwordx2 v[24:25], v7, s[2:3] offset:24 glc dlc
	s_waitcnt vmcnt(0)
	buffer_gl1_inv
	buffer_gl0_inv
	s_clause 0x1
	global_load_dwordx2 v[22:23], v7, s[2:3] offset:40
	global_load_dwordx2 v[27:28], v7, s[2:3]
	s_mov_b32 s13, exec_lo
	s_waitcnt vmcnt(1)
	v_and_b32_e32 v6, v23, v25
	v_and_b32_e32 v22, v22, v24
	v_mul_lo_u32 v6, v6, 24
	v_mul_hi_u32 v23, v22, 24
	v_mul_lo_u32 v22, v22, 24
	v_add_nc_u32_e32 v6, v23, v6
	s_waitcnt vmcnt(0)
	v_add_co_u32 v22, vcc_lo, v27, v22
	v_add_co_ci_u32_e64 v23, null, v28, v6, vcc_lo
	global_load_dwordx2 v[22:23], v[22:23], off glc dlc
	s_waitcnt vmcnt(0)
	global_atomic_cmpswap_x2 v[27:28], v7, v[22:25], s[2:3] offset:24 glc
	s_waitcnt vmcnt(0)
	buffer_gl1_inv
	buffer_gl0_inv
	v_cmpx_ne_u64_e64 v[27:28], v[24:25]
	s_cbranch_execz .LBB6_501
; %bb.498:                              ;   in Loop: Header=BB6_447 Depth=1
	s_mov_b32 s14, 0
	.p2align	6
.LBB6_499:                              ;   Parent Loop BB6_447 Depth=1
                                        ; =>  This Inner Loop Header: Depth=2
	s_sleep 1
	s_clause 0x1
	global_load_dwordx2 v[22:23], v7, s[2:3] offset:40
	global_load_dwordx2 v[33:34], v7, s[2:3]
	v_mov_b32_e32 v24, v27
	v_mov_b32_e32 v25, v28
	s_waitcnt vmcnt(1)
	v_and_b32_e32 v6, v22, v24
	v_and_b32_e32 v22, v23, v25
	s_waitcnt vmcnt(0)
	v_mad_u64_u32 v[27:28], null, v6, 24, v[33:34]
	v_mov_b32_e32 v6, v28
	v_mad_u64_u32 v[22:23], null, v22, 24, v[6:7]
	v_mov_b32_e32 v28, v22
	global_load_dwordx2 v[22:23], v[27:28], off glc dlc
	s_waitcnt vmcnt(0)
	global_atomic_cmpswap_x2 v[27:28], v7, v[22:25], s[2:3] offset:24 glc
	s_waitcnt vmcnt(0)
	buffer_gl1_inv
	buffer_gl0_inv
	v_cmp_eq_u64_e32 vcc_lo, v[27:28], v[24:25]
	s_or_b32 s14, vcc_lo, s14
	s_andn2_b32 exec_lo, exec_lo, s14
	s_cbranch_execnz .LBB6_499
; %bb.500:                              ;   in Loop: Header=BB6_447 Depth=1
	s_or_b32 exec_lo, exec_lo, s14
.LBB6_501:                              ;   in Loop: Header=BB6_447 Depth=1
	s_or_b32 exec_lo, exec_lo, s13
.LBB6_502:                              ;   in Loop: Header=BB6_447 Depth=1
	s_or_b32 exec_lo, exec_lo, s12
	s_clause 0x1
	global_load_dwordx2 v[33:34], v7, s[2:3] offset:40
	global_load_dwordx4 v[22:25], v7, s[2:3]
	v_readfirstlane_b32 s13, v28
	v_readfirstlane_b32 s12, v27
	s_mov_b32 s16, exec_lo
	s_waitcnt vmcnt(1)
	v_readfirstlane_b32 s14, v33
	v_readfirstlane_b32 s15, v34
	s_and_b64 s[14:15], s[14:15], s[12:13]
	s_mul_i32 s17, s15, 24
	s_mul_hi_u32 s18, s14, 24
	s_mul_i32 s19, s14, 24
	s_add_i32 s18, s18, s17
	s_waitcnt vmcnt(0)
	v_add_co_u32 v27, vcc_lo, v22, s19
	v_add_co_ci_u32_e64 v28, null, s18, v23, vcc_lo
	s_and_saveexec_b32 s17, s1
	s_cbranch_execz .LBB6_504
; %bb.503:                              ;   in Loop: Header=BB6_447 Depth=1
	v_mov_b32_e32 v6, s16
	global_store_dwordx4 v[27:28], v[6:9], off offset:8
.LBB6_504:                              ;   in Loop: Header=BB6_447 Depth=1
	s_or_b32 exec_lo, exec_lo, s17
	v_cmp_lt_u64_e64 vcc_lo, s[6:7], 57
	s_lshl_b64 s[14:15], s[14:15], 12
	v_and_b32_e32 v2, 0xffffff1f, v2
	v_cndmask_b32_e32 v6, 0, v32, vcc_lo
	v_add_co_u32 v24, vcc_lo, v24, s14
	v_add_co_ci_u32_e64 v25, null, s15, v25, vcc_lo
	v_or_b32_e32 v2, v2, v6
	s_lshl_b32 s14, s10, 2
	s_add_i32 s16, s14, 28
	v_readfirstlane_b32 s14, v24
	v_readfirstlane_b32 s15, v25
	v_and_or_b32 v2, 0x1e0, s16, v2
	global_store_dwordx4 v30, v[10:13], s[14:15] offset:16
	global_store_dwordx4 v30, v[2:5], s[14:15]
	global_store_dwordx4 v30, v[14:17], s[14:15] offset:32
	global_store_dwordx4 v30, v[18:21], s[14:15] offset:48
	s_and_saveexec_b32 s14, s1
	s_cbranch_execz .LBB6_512
; %bb.505:                              ;   in Loop: Header=BB6_447 Depth=1
	s_clause 0x1
	global_load_dwordx2 v[14:15], v7, s[2:3] offset:32 glc dlc
	global_load_dwordx2 v[2:3], v7, s[2:3] offset:40
	v_mov_b32_e32 v12, s12
	v_mov_b32_e32 v13, s13
	s_waitcnt vmcnt(0)
	v_readfirstlane_b32 s16, v2
	v_readfirstlane_b32 s17, v3
	s_and_b64 s[16:17], s[16:17], s[12:13]
	s_mul_i32 s15, s17, 24
	s_mul_hi_u32 s17, s16, 24
	s_mul_i32 s16, s16, 24
	s_add_i32 s17, s17, s15
	v_add_co_u32 v10, vcc_lo, v22, s16
	v_add_co_ci_u32_e64 v11, null, s17, v23, vcc_lo
	s_mov_b32 s15, exec_lo
	global_store_dwordx2 v[10:11], v[14:15], off
	s_waitcnt_vscnt null, 0x0
	global_atomic_cmpswap_x2 v[4:5], v7, v[12:15], s[2:3] offset:32 glc
	s_waitcnt vmcnt(0)
	v_cmpx_ne_u64_e64 v[4:5], v[14:15]
	s_cbranch_execz .LBB6_508
; %bb.506:                              ;   in Loop: Header=BB6_447 Depth=1
	s_mov_b32 s16, 0
.LBB6_507:                              ;   Parent Loop BB6_447 Depth=1
                                        ; =>  This Inner Loop Header: Depth=2
	v_mov_b32_e32 v2, s12
	v_mov_b32_e32 v3, s13
	s_sleep 1
	global_store_dwordx2 v[10:11], v[4:5], off
	s_waitcnt_vscnt null, 0x0
	global_atomic_cmpswap_x2 v[2:3], v7, v[2:5], s[2:3] offset:32 glc
	s_waitcnt vmcnt(0)
	v_cmp_eq_u64_e32 vcc_lo, v[2:3], v[4:5]
	v_mov_b32_e32 v5, v3
	v_mov_b32_e32 v4, v2
	s_or_b32 s16, vcc_lo, s16
	s_andn2_b32 exec_lo, exec_lo, s16
	s_cbranch_execnz .LBB6_507
.LBB6_508:                              ;   in Loop: Header=BB6_447 Depth=1
	s_or_b32 exec_lo, exec_lo, s15
	global_load_dwordx2 v[2:3], v7, s[2:3] offset:16
	s_mov_b32 s16, exec_lo
	s_mov_b32 s15, exec_lo
	v_mbcnt_lo_u32_b32 v4, s16, 0
	v_cmpx_eq_u32_e32 0, v4
	s_cbranch_execz .LBB6_510
; %bb.509:                              ;   in Loop: Header=BB6_447 Depth=1
	s_bcnt1_i32_b32 s16, s16
	v_mov_b32_e32 v6, s16
	s_waitcnt vmcnt(0)
	global_atomic_add_x2 v[2:3], v[6:7], off offset:8
.LBB6_510:                              ;   in Loop: Header=BB6_447 Depth=1
	s_or_b32 exec_lo, exec_lo, s15
	s_waitcnt vmcnt(0)
	global_load_dwordx2 v[4:5], v[2:3], off offset:16
	s_waitcnt vmcnt(0)
	v_cmp_eq_u64_e32 vcc_lo, 0, v[4:5]
	s_cbranch_vccnz .LBB6_512
; %bb.511:                              ;   in Loop: Header=BB6_447 Depth=1
	global_load_dword v6, v[2:3], off offset:24
	s_waitcnt vmcnt(0)
	v_readfirstlane_b32 s15, v6
	s_waitcnt_vscnt null, 0x0
	global_store_dwordx2 v[4:5], v[6:7], off
	s_and_b32 m0, s15, 0x7fffff
	s_sendmsg sendmsg(MSG_INTERRUPT)
.LBB6_512:                              ;   in Loop: Header=BB6_447 Depth=1
	s_or_b32 exec_lo, exec_lo, s14
	v_add_co_u32 v2, vcc_lo, v24, v30
	v_add_co_ci_u32_e64 v3, null, 0, v25, vcc_lo
	s_branch .LBB6_516
	.p2align	6
.LBB6_513:                              ;   in Loop: Header=BB6_516 Depth=2
	s_or_b32 exec_lo, exec_lo, s14
	v_readfirstlane_b32 s14, v4
	s_cmp_eq_u32 s14, 0
	s_cbranch_scc1 .LBB6_515
; %bb.514:                              ;   in Loop: Header=BB6_516 Depth=2
	s_sleep 1
	s_cbranch_execnz .LBB6_516
	s_branch .LBB6_518
	.p2align	6
.LBB6_515:                              ;   in Loop: Header=BB6_447 Depth=1
	s_branch .LBB6_518
.LBB6_516:                              ;   Parent Loop BB6_447 Depth=1
                                        ; =>  This Inner Loop Header: Depth=2
	v_mov_b32_e32 v4, 1
	s_and_saveexec_b32 s14, s1
	s_cbranch_execz .LBB6_513
; %bb.517:                              ;   in Loop: Header=BB6_516 Depth=2
	global_load_dword v4, v[27:28], off offset:20 glc dlc
	s_waitcnt vmcnt(0)
	buffer_gl1_inv
	buffer_gl0_inv
	v_and_b32_e32 v4, 1, v4
	s_branch .LBB6_513
.LBB6_518:                              ;   in Loop: Header=BB6_447 Depth=1
	global_load_dwordx2 v[2:3], v[2:3], off
	s_and_saveexec_b32 s14, s1
	s_cbranch_execz .LBB6_446
; %bb.519:                              ;   in Loop: Header=BB6_447 Depth=1
	s_clause 0x2
	global_load_dwordx2 v[4:5], v7, s[2:3] offset:40
	global_load_dwordx2 v[14:15], v7, s[2:3] offset:24 glc dlc
	global_load_dwordx2 v[10:11], v7, s[2:3]
	s_waitcnt vmcnt(2)
	v_readfirstlane_b32 s16, v4
	v_readfirstlane_b32 s17, v5
	s_add_u32 s1, s16, 1
	s_addc_u32 s15, s17, 0
	s_add_u32 s12, s1, s12
	s_addc_u32 s13, s15, s13
	s_cmp_eq_u64 s[12:13], 0
	s_cselect_b32 s13, s15, s13
	s_cselect_b32 s12, s1, s12
	v_mov_b32_e32 v13, s13
	s_and_b64 s[16:17], s[12:13], s[16:17]
	v_mov_b32_e32 v12, s12
	s_mul_i32 s1, s17, 24
	s_mul_hi_u32 s15, s16, 24
	s_mul_i32 s16, s16, 24
	s_add_i32 s15, s15, s1
	s_waitcnt vmcnt(0)
	v_add_co_u32 v4, vcc_lo, v10, s16
	v_add_co_ci_u32_e64 v5, null, s15, v11, vcc_lo
	global_store_dwordx2 v[4:5], v[14:15], off
	s_waitcnt_vscnt null, 0x0
	global_atomic_cmpswap_x2 v[12:13], v7, v[12:15], s[2:3] offset:24 glc
	s_waitcnt vmcnt(0)
	v_cmp_ne_u64_e32 vcc_lo, v[12:13], v[14:15]
	s_and_b32 exec_lo, exec_lo, vcc_lo
	s_cbranch_execz .LBB6_446
; %bb.520:                              ;   in Loop: Header=BB6_447 Depth=1
	s_mov_b32 s1, 0
.LBB6_521:                              ;   Parent Loop BB6_447 Depth=1
                                        ; =>  This Inner Loop Header: Depth=2
	v_mov_b32_e32 v10, s12
	v_mov_b32_e32 v11, s13
	s_sleep 1
	global_store_dwordx2 v[4:5], v[12:13], off
	s_waitcnt_vscnt null, 0x0
	global_atomic_cmpswap_x2 v[10:11], v7, v[10:13], s[2:3] offset:24 glc
	s_waitcnt vmcnt(0)
	v_cmp_eq_u64_e32 vcc_lo, v[10:11], v[12:13]
	v_mov_b32_e32 v13, v11
	v_mov_b32_e32 v12, v10
	s_or_b32 s1, vcc_lo, s1
	s_andn2_b32 exec_lo, exec_lo, s1
	s_cbranch_execnz .LBB6_521
	s_branch .LBB6_446
.LBB6_522:
	s_branch .LBB6_551
.LBB6_523:
                                        ; implicit-def: $vgpr2_vgpr3
	s_cbranch_execz .LBB6_551
; %bb.524:
	v_readfirstlane_b32 s1, v31
	v_mov_b32_e32 v8, 0
	v_mov_b32_e32 v9, 0
	v_cmp_eq_u32_e64 s1, s1, v31
	s_and_saveexec_b32 s6, s1
	s_cbranch_execz .LBB6_530
; %bb.525:
	s_waitcnt vmcnt(0)
	v_mov_b32_e32 v2, 0
	s_mov_b32 s7, exec_lo
	global_load_dwordx2 v[5:6], v2, s[2:3] offset:24 glc dlc
	s_waitcnt vmcnt(0)
	buffer_gl1_inv
	buffer_gl0_inv
	s_clause 0x1
	global_load_dwordx2 v[3:4], v2, s[2:3] offset:40
	global_load_dwordx2 v[7:8], v2, s[2:3]
	s_waitcnt vmcnt(1)
	v_and_b32_e32 v4, v4, v6
	v_and_b32_e32 v3, v3, v5
	v_mul_lo_u32 v4, v4, 24
	v_mul_hi_u32 v9, v3, 24
	v_mul_lo_u32 v3, v3, 24
	v_add_nc_u32_e32 v4, v9, v4
	s_waitcnt vmcnt(0)
	v_add_co_u32 v3, vcc_lo, v7, v3
	v_add_co_ci_u32_e64 v4, null, v8, v4, vcc_lo
	global_load_dwordx2 v[3:4], v[3:4], off glc dlc
	s_waitcnt vmcnt(0)
	global_atomic_cmpswap_x2 v[8:9], v2, v[3:6], s[2:3] offset:24 glc
	s_waitcnt vmcnt(0)
	buffer_gl1_inv
	buffer_gl0_inv
	v_cmpx_ne_u64_e64 v[8:9], v[5:6]
	s_cbranch_execz .LBB6_529
; %bb.526:
	s_mov_b32 s8, 0
	.p2align	6
.LBB6_527:                              ; =>This Inner Loop Header: Depth=1
	s_sleep 1
	s_clause 0x1
	global_load_dwordx2 v[3:4], v2, s[2:3] offset:40
	global_load_dwordx2 v[10:11], v2, s[2:3]
	v_mov_b32_e32 v5, v8
	v_mov_b32_e32 v6, v9
	s_waitcnt vmcnt(1)
	v_and_b32_e32 v3, v3, v5
	v_and_b32_e32 v4, v4, v6
	s_waitcnt vmcnt(0)
	v_mad_u64_u32 v[7:8], null, v3, 24, v[10:11]
	v_mov_b32_e32 v3, v8
	v_mad_u64_u32 v[3:4], null, v4, 24, v[3:4]
	v_mov_b32_e32 v8, v3
	global_load_dwordx2 v[3:4], v[7:8], off glc dlc
	s_waitcnt vmcnt(0)
	global_atomic_cmpswap_x2 v[8:9], v2, v[3:6], s[2:3] offset:24 glc
	s_waitcnt vmcnt(0)
	buffer_gl1_inv
	buffer_gl0_inv
	v_cmp_eq_u64_e32 vcc_lo, v[8:9], v[5:6]
	s_or_b32 s8, vcc_lo, s8
	s_andn2_b32 exec_lo, exec_lo, s8
	s_cbranch_execnz .LBB6_527
; %bb.528:
	s_or_b32 exec_lo, exec_lo, s8
.LBB6_529:
	s_or_b32 exec_lo, exec_lo, s7
.LBB6_530:
	s_or_b32 exec_lo, exec_lo, s6
	s_waitcnt vmcnt(0)
	v_mov_b32_e32 v2, 0
	v_readfirstlane_b32 s7, v9
	v_readfirstlane_b32 s6, v8
	s_mov_b32 s10, exec_lo
	s_clause 0x1
	global_load_dwordx2 v[10:11], v2, s[2:3] offset:40
	global_load_dwordx4 v[4:7], v2, s[2:3]
	s_waitcnt vmcnt(1)
	v_readfirstlane_b32 s8, v10
	v_readfirstlane_b32 s9, v11
	s_and_b64 s[8:9], s[8:9], s[6:7]
	s_mul_i32 s11, s9, 24
	s_mul_hi_u32 s12, s8, 24
	s_mul_i32 s13, s8, 24
	s_add_i32 s12, s12, s11
	s_waitcnt vmcnt(0)
	v_add_co_u32 v8, vcc_lo, v4, s13
	v_add_co_ci_u32_e64 v9, null, s12, v5, vcc_lo
	s_and_saveexec_b32 s11, s1
	s_cbranch_execz .LBB6_532
; %bb.531:
	v_mov_b32_e32 v10, s10
	v_mov_b32_e32 v11, v2
	;; [unrolled: 1-line block ×4, first 2 shown]
	global_store_dwordx4 v[8:9], v[10:13], off offset:8
.LBB6_532:
	s_or_b32 exec_lo, exec_lo, s11
	s_lshl_b64 s[8:9], s[8:9], 12
	v_and_or_b32 v0, 0xffffff1f, v0, 32
	v_add_co_u32 v6, vcc_lo, v6, s8
	v_add_co_ci_u32_e64 v7, null, s9, v7, vcc_lo
	s_mov_b32 s8, 0
	v_readfirstlane_b32 s12, v6
	s_mov_b32 s11, s8
	v_add_co_u32 v6, vcc_lo, v6, v30
	s_mov_b32 s9, s8
	s_mov_b32 s10, s8
	v_mov_b32_e32 v3, v2
	v_readfirstlane_b32 s13, v7
	v_mov_b32_e32 v13, s11
	v_add_co_ci_u32_e64 v7, null, 0, v7, vcc_lo
	v_mov_b32_e32 v12, s10
	v_mov_b32_e32 v11, s9
	;; [unrolled: 1-line block ×3, first 2 shown]
	global_store_dwordx4 v30, v[0:3], s[12:13]
	global_store_dwordx4 v30, v[10:13], s[12:13] offset:16
	global_store_dwordx4 v30, v[10:13], s[12:13] offset:32
	;; [unrolled: 1-line block ×3, first 2 shown]
	s_and_saveexec_b32 s8, s1
	s_cbranch_execz .LBB6_540
; %bb.533:
	v_mov_b32_e32 v10, 0
	v_mov_b32_e32 v11, s6
	;; [unrolled: 1-line block ×3, first 2 shown]
	s_clause 0x1
	global_load_dwordx2 v[13:14], v10, s[2:3] offset:32 glc dlc
	global_load_dwordx2 v[0:1], v10, s[2:3] offset:40
	s_waitcnt vmcnt(0)
	v_readfirstlane_b32 s10, v0
	v_readfirstlane_b32 s11, v1
	s_and_b64 s[10:11], s[10:11], s[6:7]
	s_mul_i32 s9, s11, 24
	s_mul_hi_u32 s11, s10, 24
	s_mul_i32 s10, s10, 24
	s_add_i32 s11, s11, s9
	v_add_co_u32 v4, vcc_lo, v4, s10
	v_add_co_ci_u32_e64 v5, null, s11, v5, vcc_lo
	s_mov_b32 s9, exec_lo
	global_store_dwordx2 v[4:5], v[13:14], off
	s_waitcnt_vscnt null, 0x0
	global_atomic_cmpswap_x2 v[2:3], v10, v[11:14], s[2:3] offset:32 glc
	s_waitcnt vmcnt(0)
	v_cmpx_ne_u64_e64 v[2:3], v[13:14]
	s_cbranch_execz .LBB6_536
; %bb.534:
	s_mov_b32 s10, 0
.LBB6_535:                              ; =>This Inner Loop Header: Depth=1
	v_mov_b32_e32 v0, s6
	v_mov_b32_e32 v1, s7
	s_sleep 1
	global_store_dwordx2 v[4:5], v[2:3], off
	s_waitcnt_vscnt null, 0x0
	global_atomic_cmpswap_x2 v[0:1], v10, v[0:3], s[2:3] offset:32 glc
	s_waitcnt vmcnt(0)
	v_cmp_eq_u64_e32 vcc_lo, v[0:1], v[2:3]
	v_mov_b32_e32 v3, v1
	v_mov_b32_e32 v2, v0
	s_or_b32 s10, vcc_lo, s10
	s_andn2_b32 exec_lo, exec_lo, s10
	s_cbranch_execnz .LBB6_535
.LBB6_536:
	s_or_b32 exec_lo, exec_lo, s9
	v_mov_b32_e32 v3, 0
	s_mov_b32 s10, exec_lo
	s_mov_b32 s9, exec_lo
	v_mbcnt_lo_u32_b32 v2, s10, 0
	global_load_dwordx2 v[0:1], v3, s[2:3] offset:16
	v_cmpx_eq_u32_e32 0, v2
	s_cbranch_execz .LBB6_538
; %bb.537:
	s_bcnt1_i32_b32 s10, s10
	v_mov_b32_e32 v2, s10
	s_waitcnt vmcnt(0)
	global_atomic_add_x2 v[0:1], v[2:3], off offset:8
.LBB6_538:
	s_or_b32 exec_lo, exec_lo, s9
	s_waitcnt vmcnt(0)
	global_load_dwordx2 v[2:3], v[0:1], off offset:16
	s_waitcnt vmcnt(0)
	v_cmp_eq_u64_e32 vcc_lo, 0, v[2:3]
	s_cbranch_vccnz .LBB6_540
; %bb.539:
	global_load_dword v0, v[0:1], off offset:24
	v_mov_b32_e32 v1, 0
	s_waitcnt vmcnt(0)
	v_readfirstlane_b32 s9, v0
	s_waitcnt_vscnt null, 0x0
	global_store_dwordx2 v[2:3], v[0:1], off
	s_and_b32 m0, s9, 0x7fffff
	s_sendmsg sendmsg(MSG_INTERRUPT)
.LBB6_540:
	s_or_b32 exec_lo, exec_lo, s8
	s_branch .LBB6_544
	.p2align	6
.LBB6_541:                              ;   in Loop: Header=BB6_544 Depth=1
	s_or_b32 exec_lo, exec_lo, s8
	v_readfirstlane_b32 s8, v0
	s_cmp_eq_u32 s8, 0
	s_cbranch_scc1 .LBB6_543
; %bb.542:                              ;   in Loop: Header=BB6_544 Depth=1
	s_sleep 1
	s_cbranch_execnz .LBB6_544
	s_branch .LBB6_546
	.p2align	6
.LBB6_543:
	s_branch .LBB6_546
.LBB6_544:                              ; =>This Inner Loop Header: Depth=1
	v_mov_b32_e32 v0, 1
	s_and_saveexec_b32 s8, s1
	s_cbranch_execz .LBB6_541
; %bb.545:                              ;   in Loop: Header=BB6_544 Depth=1
	global_load_dword v0, v[8:9], off offset:20 glc dlc
	s_waitcnt vmcnt(0)
	buffer_gl1_inv
	buffer_gl0_inv
	v_and_b32_e32 v0, 1, v0
	s_branch .LBB6_541
.LBB6_546:
	global_load_dwordx2 v[2:3], v[6:7], off
	s_and_saveexec_b32 s8, s1
	s_cbranch_execz .LBB6_550
; %bb.547:
	v_mov_b32_e32 v8, 0
	s_clause 0x2
	global_load_dwordx2 v[0:1], v8, s[2:3] offset:40
	global_load_dwordx2 v[11:12], v8, s[2:3] offset:24 glc dlc
	global_load_dwordx2 v[4:5], v8, s[2:3]
	s_waitcnt vmcnt(2)
	v_readfirstlane_b32 s10, v0
	v_readfirstlane_b32 s11, v1
	s_add_u32 s1, s10, 1
	s_addc_u32 s9, s11, 0
	s_add_u32 s6, s1, s6
	s_addc_u32 s7, s9, s7
	s_cmp_eq_u64 s[6:7], 0
	s_cselect_b32 s7, s9, s7
	s_cselect_b32 s6, s1, s6
	v_mov_b32_e32 v10, s7
	s_and_b64 s[10:11], s[6:7], s[10:11]
	v_mov_b32_e32 v9, s6
	s_mul_i32 s1, s11, 24
	s_mul_hi_u32 s9, s10, 24
	s_mul_i32 s10, s10, 24
	s_add_i32 s9, s9, s1
	s_waitcnt vmcnt(0)
	v_add_co_u32 v0, vcc_lo, v4, s10
	v_add_co_ci_u32_e64 v1, null, s9, v5, vcc_lo
	global_store_dwordx2 v[0:1], v[11:12], off
	s_waitcnt_vscnt null, 0x0
	global_atomic_cmpswap_x2 v[6:7], v8, v[9:12], s[2:3] offset:24 glc
	s_waitcnt vmcnt(0)
	v_cmp_ne_u64_e32 vcc_lo, v[6:7], v[11:12]
	s_and_b32 exec_lo, exec_lo, vcc_lo
	s_cbranch_execz .LBB6_550
; %bb.548:
	s_mov_b32 s1, 0
.LBB6_549:                              ; =>This Inner Loop Header: Depth=1
	v_mov_b32_e32 v4, s6
	v_mov_b32_e32 v5, s7
	s_sleep 1
	global_store_dwordx2 v[0:1], v[6:7], off
	s_waitcnt_vscnt null, 0x0
	global_atomic_cmpswap_x2 v[4:5], v8, v[4:7], s[2:3] offset:24 glc
	s_waitcnt vmcnt(0)
	v_cmp_eq_u64_e32 vcc_lo, v[4:5], v[6:7]
	v_mov_b32_e32 v7, v5
	v_mov_b32_e32 v6, v4
	s_or_b32 s1, vcc_lo, s1
	s_andn2_b32 exec_lo, exec_lo, s1
	s_cbranch_execnz .LBB6_549
.LBB6_550:
	s_or_b32 exec_lo, exec_lo, s8
.LBB6_551:
	v_readfirstlane_b32 s1, v31
	s_waitcnt vmcnt(0)
	v_mov_b32_e32 v0, 0
	v_mov_b32_e32 v1, 0
	v_cmp_eq_u32_e64 s1, s1, v31
	s_and_saveexec_b32 s6, s1
	s_cbranch_execz .LBB6_557
; %bb.552:
	v_mov_b32_e32 v4, 0
	s_mov_b32 s7, exec_lo
	global_load_dwordx2 v[7:8], v4, s[2:3] offset:24 glc dlc
	s_waitcnt vmcnt(0)
	buffer_gl1_inv
	buffer_gl0_inv
	s_clause 0x1
	global_load_dwordx2 v[0:1], v4, s[2:3] offset:40
	global_load_dwordx2 v[5:6], v4, s[2:3]
	s_waitcnt vmcnt(1)
	v_and_b32_e32 v1, v1, v8
	v_and_b32_e32 v0, v0, v7
	v_mul_lo_u32 v1, v1, 24
	v_mul_hi_u32 v9, v0, 24
	v_mul_lo_u32 v0, v0, 24
	v_add_nc_u32_e32 v1, v9, v1
	s_waitcnt vmcnt(0)
	v_add_co_u32 v0, vcc_lo, v5, v0
	v_add_co_ci_u32_e64 v1, null, v6, v1, vcc_lo
	global_load_dwordx2 v[5:6], v[0:1], off glc dlc
	s_waitcnt vmcnt(0)
	global_atomic_cmpswap_x2 v[0:1], v4, v[5:8], s[2:3] offset:24 glc
	s_waitcnt vmcnt(0)
	buffer_gl1_inv
	buffer_gl0_inv
	v_cmpx_ne_u64_e64 v[0:1], v[7:8]
	s_cbranch_execz .LBB6_556
; %bb.553:
	s_mov_b32 s8, 0
	.p2align	6
.LBB6_554:                              ; =>This Inner Loop Header: Depth=1
	s_sleep 1
	s_clause 0x1
	global_load_dwordx2 v[5:6], v4, s[2:3] offset:40
	global_load_dwordx2 v[9:10], v4, s[2:3]
	v_mov_b32_e32 v8, v1
	v_mov_b32_e32 v7, v0
	s_waitcnt vmcnt(1)
	v_and_b32_e32 v0, v5, v7
	v_and_b32_e32 v5, v6, v8
	s_waitcnt vmcnt(0)
	v_mad_u64_u32 v[0:1], null, v0, 24, v[9:10]
	v_mad_u64_u32 v[5:6], null, v5, 24, v[1:2]
	v_mov_b32_e32 v1, v5
	global_load_dwordx2 v[5:6], v[0:1], off glc dlc
	s_waitcnt vmcnt(0)
	global_atomic_cmpswap_x2 v[0:1], v4, v[5:8], s[2:3] offset:24 glc
	s_waitcnt vmcnt(0)
	buffer_gl1_inv
	buffer_gl0_inv
	v_cmp_eq_u64_e32 vcc_lo, v[0:1], v[7:8]
	s_or_b32 s8, vcc_lo, s8
	s_andn2_b32 exec_lo, exec_lo, s8
	s_cbranch_execnz .LBB6_554
; %bb.555:
	s_or_b32 exec_lo, exec_lo, s8
.LBB6_556:
	s_or_b32 exec_lo, exec_lo, s7
.LBB6_557:
	s_or_b32 exec_lo, exec_lo, s6
	v_mov_b32_e32 v5, 0
	v_readfirstlane_b32 s7, v1
	v_readfirstlane_b32 s6, v0
	s_mov_b32 s10, exec_lo
	s_clause 0x1
	global_load_dwordx2 v[10:11], v5, s[2:3] offset:40
	global_load_dwordx4 v[6:9], v5, s[2:3]
	s_waitcnt vmcnt(1)
	v_readfirstlane_b32 s8, v10
	v_readfirstlane_b32 s9, v11
	s_and_b64 s[8:9], s[8:9], s[6:7]
	s_mul_i32 s11, s9, 24
	s_mul_hi_u32 s12, s8, 24
	s_mul_i32 s13, s8, 24
	s_add_i32 s12, s12, s11
	s_waitcnt vmcnt(0)
	v_add_co_u32 v10, vcc_lo, v6, s13
	v_add_co_ci_u32_e64 v11, null, s12, v7, vcc_lo
	s_and_saveexec_b32 s11, s1
	s_cbranch_execz .LBB6_559
; %bb.558:
	v_mov_b32_e32 v4, s10
	v_mov_b32_e32 v13, v5
	;; [unrolled: 1-line block ×5, first 2 shown]
	global_store_dwordx4 v[10:11], v[12:15], off offset:8
.LBB6_559:
	s_or_b32 exec_lo, exec_lo, s11
	s_lshl_b64 s[8:9], s[8:9], 12
	v_and_or_b32 v2, 0xffffff1f, v2, 32
	v_add_co_u32 v0, vcc_lo, v8, s8
	v_add_co_ci_u32_e64 v1, null, s9, v9, vcc_lo
	s_mov_b32 s8, 0
	v_add_co_u32 v8, vcc_lo, v0, v30
	s_mov_b32 s11, s8
	s_mov_b32 s9, s8
	s_mov_b32 s10, s8
	v_mov_b32_e32 v4, 31
	v_readfirstlane_b32 s12, v0
	v_readfirstlane_b32 s13, v1
	v_mov_b32_e32 v15, s11
	v_add_co_ci_u32_e64 v9, null, 0, v1, vcc_lo
	v_mov_b32_e32 v14, s10
	v_mov_b32_e32 v13, s9
	;; [unrolled: 1-line block ×3, first 2 shown]
	global_store_dwordx4 v30, v[2:5], s[12:13]
	global_store_dwordx4 v30, v[12:15], s[12:13] offset:16
	global_store_dwordx4 v30, v[12:15], s[12:13] offset:32
	global_store_dwordx4 v30, v[12:15], s[12:13] offset:48
	s_and_saveexec_b32 s8, s1
	s_cbranch_execz .LBB6_567
; %bb.560:
	v_mov_b32_e32 v12, 0
	v_mov_b32_e32 v13, s6
	;; [unrolled: 1-line block ×3, first 2 shown]
	s_clause 0x1
	global_load_dwordx2 v[15:16], v12, s[2:3] offset:32 glc dlc
	global_load_dwordx2 v[0:1], v12, s[2:3] offset:40
	s_waitcnt vmcnt(0)
	v_readfirstlane_b32 s10, v0
	v_readfirstlane_b32 s11, v1
	s_and_b64 s[10:11], s[10:11], s[6:7]
	s_mul_i32 s9, s11, 24
	s_mul_hi_u32 s11, s10, 24
	s_mul_i32 s10, s10, 24
	s_add_i32 s11, s11, s9
	v_add_co_u32 v4, vcc_lo, v6, s10
	v_add_co_ci_u32_e64 v5, null, s11, v7, vcc_lo
	s_mov_b32 s9, exec_lo
	global_store_dwordx2 v[4:5], v[15:16], off
	s_waitcnt_vscnt null, 0x0
	global_atomic_cmpswap_x2 v[2:3], v12, v[13:16], s[2:3] offset:32 glc
	s_waitcnt vmcnt(0)
	v_cmpx_ne_u64_e64 v[2:3], v[15:16]
	s_cbranch_execz .LBB6_563
; %bb.561:
	s_mov_b32 s10, 0
.LBB6_562:                              ; =>This Inner Loop Header: Depth=1
	v_mov_b32_e32 v0, s6
	v_mov_b32_e32 v1, s7
	s_sleep 1
	global_store_dwordx2 v[4:5], v[2:3], off
	s_waitcnt_vscnt null, 0x0
	global_atomic_cmpswap_x2 v[0:1], v12, v[0:3], s[2:3] offset:32 glc
	s_waitcnt vmcnt(0)
	v_cmp_eq_u64_e32 vcc_lo, v[0:1], v[2:3]
	v_mov_b32_e32 v3, v1
	v_mov_b32_e32 v2, v0
	s_or_b32 s10, vcc_lo, s10
	s_andn2_b32 exec_lo, exec_lo, s10
	s_cbranch_execnz .LBB6_562
.LBB6_563:
	s_or_b32 exec_lo, exec_lo, s9
	v_mov_b32_e32 v3, 0
	s_mov_b32 s10, exec_lo
	s_mov_b32 s9, exec_lo
	v_mbcnt_lo_u32_b32 v2, s10, 0
	global_load_dwordx2 v[0:1], v3, s[2:3] offset:16
	v_cmpx_eq_u32_e32 0, v2
	s_cbranch_execz .LBB6_565
; %bb.564:
	s_bcnt1_i32_b32 s10, s10
	v_mov_b32_e32 v2, s10
	s_waitcnt vmcnt(0)
	global_atomic_add_x2 v[0:1], v[2:3], off offset:8
.LBB6_565:
	s_or_b32 exec_lo, exec_lo, s9
	s_waitcnt vmcnt(0)
	global_load_dwordx2 v[2:3], v[0:1], off offset:16
	s_waitcnt vmcnt(0)
	v_cmp_eq_u64_e32 vcc_lo, 0, v[2:3]
	s_cbranch_vccnz .LBB6_567
; %bb.566:
	global_load_dword v0, v[0:1], off offset:24
	v_mov_b32_e32 v1, 0
	s_waitcnt vmcnt(0)
	v_readfirstlane_b32 s9, v0
	s_waitcnt_vscnt null, 0x0
	global_store_dwordx2 v[2:3], v[0:1], off
	s_and_b32 m0, s9, 0x7fffff
	s_sendmsg sendmsg(MSG_INTERRUPT)
.LBB6_567:
	s_or_b32 exec_lo, exec_lo, s8
	s_branch .LBB6_571
	.p2align	6
.LBB6_568:                              ;   in Loop: Header=BB6_571 Depth=1
	s_or_b32 exec_lo, exec_lo, s8
	v_readfirstlane_b32 s8, v0
	s_cmp_eq_u32 s8, 0
	s_cbranch_scc1 .LBB6_570
; %bb.569:                              ;   in Loop: Header=BB6_571 Depth=1
	s_sleep 1
	s_cbranch_execnz .LBB6_571
	s_branch .LBB6_573
	.p2align	6
.LBB6_570:
	s_branch .LBB6_573
.LBB6_571:                              ; =>This Inner Loop Header: Depth=1
	v_mov_b32_e32 v0, 1
	s_and_saveexec_b32 s8, s1
	s_cbranch_execz .LBB6_568
; %bb.572:                              ;   in Loop: Header=BB6_571 Depth=1
	global_load_dword v0, v[10:11], off offset:20 glc dlc
	s_waitcnt vmcnt(0)
	buffer_gl1_inv
	buffer_gl0_inv
	v_and_b32_e32 v0, 1, v0
	s_branch .LBB6_568
.LBB6_573:
	global_load_dwordx2 v[0:1], v[8:9], off
	s_and_saveexec_b32 s8, s1
	s_cbranch_execz .LBB6_577
; %bb.574:
	v_mov_b32_e32 v8, 0
	s_clause 0x2
	global_load_dwordx2 v[2:3], v8, s[2:3] offset:40
	global_load_dwordx2 v[11:12], v8, s[2:3] offset:24 glc dlc
	global_load_dwordx2 v[4:5], v8, s[2:3]
	s_waitcnt vmcnt(2)
	v_readfirstlane_b32 s10, v2
	v_readfirstlane_b32 s11, v3
	s_add_u32 s1, s10, 1
	s_addc_u32 s9, s11, 0
	s_add_u32 s6, s1, s6
	s_addc_u32 s7, s9, s7
	s_cmp_eq_u64 s[6:7], 0
	s_cselect_b32 s7, s9, s7
	s_cselect_b32 s6, s1, s6
	v_mov_b32_e32 v10, s7
	s_and_b64 s[10:11], s[6:7], s[10:11]
	v_mov_b32_e32 v9, s6
	s_mul_i32 s1, s11, 24
	s_mul_hi_u32 s9, s10, 24
	s_mul_i32 s10, s10, 24
	s_add_i32 s9, s9, s1
	s_waitcnt vmcnt(0)
	v_add_co_u32 v6, vcc_lo, v4, s10
	v_add_co_ci_u32_e64 v7, null, s9, v5, vcc_lo
	global_store_dwordx2 v[6:7], v[11:12], off
	s_waitcnt_vscnt null, 0x0
	global_atomic_cmpswap_x2 v[4:5], v8, v[9:12], s[2:3] offset:24 glc
	s_waitcnt vmcnt(0)
	v_cmp_ne_u64_e32 vcc_lo, v[4:5], v[11:12]
	s_and_b32 exec_lo, exec_lo, vcc_lo
	s_cbranch_execz .LBB6_577
; %bb.575:
	s_mov_b32 s1, 0
.LBB6_576:                              ; =>This Inner Loop Header: Depth=1
	v_mov_b32_e32 v2, s6
	v_mov_b32_e32 v3, s7
	s_sleep 1
	global_store_dwordx2 v[6:7], v[4:5], off
	s_waitcnt_vscnt null, 0x0
	global_atomic_cmpswap_x2 v[2:3], v8, v[2:5], s[2:3] offset:24 glc
	s_waitcnt vmcnt(0)
	v_cmp_eq_u64_e32 vcc_lo, v[2:3], v[4:5]
	v_mov_b32_e32 v5, v3
	v_mov_b32_e32 v4, v2
	s_or_b32 s1, vcc_lo, s1
	s_andn2_b32 exec_lo, exec_lo, s1
	s_cbranch_execnz .LBB6_576
.LBB6_577:
	s_or_b32 exec_lo, exec_lo, s8
	v_readfirstlane_b32 s1, v31
	v_mov_b32_e32 v8, 0
	v_mov_b32_e32 v9, 0
	v_cmp_eq_u32_e64 s1, s1, v31
	s_and_saveexec_b32 s6, s1
	s_cbranch_execz .LBB6_583
; %bb.578:
	v_mov_b32_e32 v2, 0
	s_mov_b32 s7, exec_lo
	global_load_dwordx2 v[5:6], v2, s[2:3] offset:24 glc dlc
	s_waitcnt vmcnt(0)
	buffer_gl1_inv
	buffer_gl0_inv
	s_clause 0x1
	global_load_dwordx2 v[3:4], v2, s[2:3] offset:40
	global_load_dwordx2 v[7:8], v2, s[2:3]
	s_waitcnt vmcnt(1)
	v_and_b32_e32 v4, v4, v6
	v_and_b32_e32 v3, v3, v5
	v_mul_lo_u32 v4, v4, 24
	v_mul_hi_u32 v9, v3, 24
	v_mul_lo_u32 v3, v3, 24
	v_add_nc_u32_e32 v4, v9, v4
	s_waitcnt vmcnt(0)
	v_add_co_u32 v3, vcc_lo, v7, v3
	v_add_co_ci_u32_e64 v4, null, v8, v4, vcc_lo
	global_load_dwordx2 v[3:4], v[3:4], off glc dlc
	s_waitcnt vmcnt(0)
	global_atomic_cmpswap_x2 v[8:9], v2, v[3:6], s[2:3] offset:24 glc
	s_waitcnt vmcnt(0)
	buffer_gl1_inv
	buffer_gl0_inv
	v_cmpx_ne_u64_e64 v[8:9], v[5:6]
	s_cbranch_execz .LBB6_582
; %bb.579:
	s_mov_b32 s8, 0
	.p2align	6
.LBB6_580:                              ; =>This Inner Loop Header: Depth=1
	s_sleep 1
	s_clause 0x1
	global_load_dwordx2 v[3:4], v2, s[2:3] offset:40
	global_load_dwordx2 v[10:11], v2, s[2:3]
	v_mov_b32_e32 v5, v8
	v_mov_b32_e32 v6, v9
	s_waitcnt vmcnt(1)
	v_and_b32_e32 v3, v3, v5
	v_and_b32_e32 v4, v4, v6
	s_waitcnt vmcnt(0)
	v_mad_u64_u32 v[7:8], null, v3, 24, v[10:11]
	v_mov_b32_e32 v3, v8
	v_mad_u64_u32 v[3:4], null, v4, 24, v[3:4]
	v_mov_b32_e32 v8, v3
	global_load_dwordx2 v[3:4], v[7:8], off glc dlc
	s_waitcnt vmcnt(0)
	global_atomic_cmpswap_x2 v[8:9], v2, v[3:6], s[2:3] offset:24 glc
	s_waitcnt vmcnt(0)
	buffer_gl1_inv
	buffer_gl0_inv
	v_cmp_eq_u64_e32 vcc_lo, v[8:9], v[5:6]
	s_or_b32 s8, vcc_lo, s8
	s_andn2_b32 exec_lo, exec_lo, s8
	s_cbranch_execnz .LBB6_580
; %bb.581:
	s_or_b32 exec_lo, exec_lo, s8
.LBB6_582:
	s_or_b32 exec_lo, exec_lo, s7
.LBB6_583:
	s_or_b32 exec_lo, exec_lo, s6
	v_mov_b32_e32 v3, 0
	v_readfirstlane_b32 s7, v9
	v_readfirstlane_b32 s6, v8
	s_mov_b32 s10, exec_lo
	s_clause 0x1
	global_load_dwordx2 v[10:11], v3, s[2:3] offset:40
	global_load_dwordx4 v[4:7], v3, s[2:3]
	s_waitcnt vmcnt(1)
	v_readfirstlane_b32 s8, v10
	v_readfirstlane_b32 s9, v11
	s_and_b64 s[8:9], s[8:9], s[6:7]
	s_mul_i32 s11, s9, 24
	s_mul_hi_u32 s12, s8, 24
	s_mul_i32 s13, s8, 24
	s_add_i32 s12, s12, s11
	s_waitcnt vmcnt(0)
	v_add_co_u32 v8, vcc_lo, v4, s13
	v_add_co_ci_u32_e64 v9, null, s12, v5, vcc_lo
	s_and_saveexec_b32 s11, s1
	s_cbranch_execz .LBB6_585
; %bb.584:
	v_mov_b32_e32 v2, s10
	v_mov_b32_e32 v11, v3
	;; [unrolled: 1-line block ×5, first 2 shown]
	global_store_dwordx4 v[8:9], v[10:13], off offset:8
.LBB6_585:
	s_or_b32 exec_lo, exec_lo, s11
	s_lshl_b64 s[8:9], s[8:9], 12
	v_cndmask_b32_e64 v2, -1, v29, s0
	v_add_co_u32 v6, vcc_lo, v6, s8
	v_add_co_ci_u32_e64 v7, null, s9, v7, vcc_lo
	s_mov_b32 s8, 0
	v_add_co_u32 v10, vcc_lo, v6, v30
	s_mov_b32 s11, s8
	s_mov_b32 s9, s8
	;; [unrolled: 1-line block ×3, first 2 shown]
	v_and_or_b32 v0, 0xffffff1f, v0, 32
	v_readfirstlane_b32 s12, v6
	v_readfirstlane_b32 s13, v7
	v_mov_b32_e32 v15, s11
	v_add_co_ci_u32_e64 v11, null, 0, v7, vcc_lo
	v_mov_b32_e32 v14, s10
	v_mov_b32_e32 v13, s9
	;; [unrolled: 1-line block ×3, first 2 shown]
	global_store_dwordx4 v30, v[0:3], s[12:13]
	global_store_dwordx4 v30, v[12:15], s[12:13] offset:16
	global_store_dwordx4 v30, v[12:15], s[12:13] offset:32
	;; [unrolled: 1-line block ×3, first 2 shown]
	s_and_saveexec_b32 s0, s1
	s_cbranch_execz .LBB6_593
; %bb.586:
	v_mov_b32_e32 v7, 0
	v_mov_b32_e32 v12, s6
	;; [unrolled: 1-line block ×3, first 2 shown]
	s_clause 0x1
	global_load_dwordx2 v[14:15], v7, s[2:3] offset:32 glc dlc
	global_load_dwordx2 v[0:1], v7, s[2:3] offset:40
	s_waitcnt vmcnt(0)
	v_readfirstlane_b32 s8, v0
	v_readfirstlane_b32 s9, v1
	s_and_b64 s[8:9], s[8:9], s[6:7]
	s_mul_i32 s9, s9, 24
	s_mul_hi_u32 s10, s8, 24
	s_mul_i32 s8, s8, 24
	s_add_i32 s10, s10, s9
	v_add_co_u32 v0, vcc_lo, v4, s8
	v_add_co_ci_u32_e64 v1, null, s10, v5, vcc_lo
	s_mov_b32 s8, exec_lo
	global_store_dwordx2 v[0:1], v[14:15], off
	s_waitcnt_vscnt null, 0x0
	global_atomic_cmpswap_x2 v[5:6], v7, v[12:15], s[2:3] offset:32 glc
	s_waitcnt vmcnt(0)
	v_cmpx_ne_u64_e64 v[5:6], v[14:15]
	s_cbranch_execz .LBB6_589
; %bb.587:
	s_mov_b32 s9, 0
.LBB6_588:                              ; =>This Inner Loop Header: Depth=1
	v_mov_b32_e32 v3, s6
	v_mov_b32_e32 v4, s7
	s_sleep 1
	global_store_dwordx2 v[0:1], v[5:6], off
	s_waitcnt_vscnt null, 0x0
	global_atomic_cmpswap_x2 v[3:4], v7, v[3:6], s[2:3] offset:32 glc
	s_waitcnt vmcnt(0)
	v_cmp_eq_u64_e32 vcc_lo, v[3:4], v[5:6]
	v_mov_b32_e32 v6, v4
	v_mov_b32_e32 v5, v3
	s_or_b32 s9, vcc_lo, s9
	s_andn2_b32 exec_lo, exec_lo, s9
	s_cbranch_execnz .LBB6_588
.LBB6_589:
	s_or_b32 exec_lo, exec_lo, s8
	v_mov_b32_e32 v4, 0
	s_mov_b32 s9, exec_lo
	s_mov_b32 s8, exec_lo
	v_mbcnt_lo_u32_b32 v3, s9, 0
	global_load_dwordx2 v[0:1], v4, s[2:3] offset:16
	v_cmpx_eq_u32_e32 0, v3
	s_cbranch_execz .LBB6_591
; %bb.590:
	s_bcnt1_i32_b32 s9, s9
	v_mov_b32_e32 v3, s9
	s_waitcnt vmcnt(0)
	global_atomic_add_x2 v[0:1], v[3:4], off offset:8
.LBB6_591:
	s_or_b32 exec_lo, exec_lo, s8
	s_waitcnt vmcnt(0)
	global_load_dwordx2 v[3:4], v[0:1], off offset:16
	s_waitcnt vmcnt(0)
	v_cmp_eq_u64_e32 vcc_lo, 0, v[3:4]
	s_cbranch_vccnz .LBB6_593
; %bb.592:
	global_load_dword v0, v[0:1], off offset:24
	v_mov_b32_e32 v1, 0
	s_waitcnt vmcnt(0)
	v_readfirstlane_b32 s8, v0
	s_waitcnt_vscnt null, 0x0
	global_store_dwordx2 v[3:4], v[0:1], off
	s_and_b32 m0, s8, 0x7fffff
	s_sendmsg sendmsg(MSG_INTERRUPT)
.LBB6_593:
	s_or_b32 exec_lo, exec_lo, s0
	s_branch .LBB6_597
	.p2align	6
.LBB6_594:                              ;   in Loop: Header=BB6_597 Depth=1
	s_or_b32 exec_lo, exec_lo, s0
	v_readfirstlane_b32 s0, v0
	s_cmp_eq_u32 s0, 0
	s_cbranch_scc1 .LBB6_596
; %bb.595:                              ;   in Loop: Header=BB6_597 Depth=1
	s_sleep 1
	s_cbranch_execnz .LBB6_597
	s_branch .LBB6_599
	.p2align	6
.LBB6_596:
	s_branch .LBB6_599
.LBB6_597:                              ; =>This Inner Loop Header: Depth=1
	v_mov_b32_e32 v0, 1
	s_and_saveexec_b32 s0, s1
	s_cbranch_execz .LBB6_594
; %bb.598:                              ;   in Loop: Header=BB6_597 Depth=1
	global_load_dword v0, v[8:9], off offset:20 glc dlc
	s_waitcnt vmcnt(0)
	buffer_gl1_inv
	buffer_gl0_inv
	v_and_b32_e32 v0, 1, v0
	s_branch .LBB6_594
.LBB6_599:
	global_load_dwordx2 v[3:4], v[10:11], off
	s_and_saveexec_b32 s8, s1
	s_cbranch_execz .LBB6_603
; %bb.600:
	v_mov_b32_e32 v9, 0
	s_clause 0x2
	global_load_dwordx2 v[0:1], v9, s[2:3] offset:40
	global_load_dwordx2 v[12:13], v9, s[2:3] offset:24 glc dlc
	global_load_dwordx2 v[5:6], v9, s[2:3]
	s_waitcnt vmcnt(2)
	v_readfirstlane_b32 s10, v0
	v_readfirstlane_b32 s11, v1
	s_add_u32 s9, s10, 1
	s_addc_u32 s12, s11, 0
	s_add_u32 s0, s9, s6
	s_addc_u32 s1, s12, s7
	s_cmp_eq_u64 s[0:1], 0
	s_cselect_b32 s1, s12, s1
	s_cselect_b32 s0, s9, s0
	v_mov_b32_e32 v11, s1
	s_and_b64 s[6:7], s[0:1], s[10:11]
	v_mov_b32_e32 v10, s0
	s_mul_i32 s7, s7, 24
	s_mul_hi_u32 s9, s6, 24
	s_mul_i32 s6, s6, 24
	s_add_i32 s9, s9, s7
	s_waitcnt vmcnt(0)
	v_add_co_u32 v0, vcc_lo, v5, s6
	v_add_co_ci_u32_e64 v1, null, s9, v6, vcc_lo
	global_store_dwordx2 v[0:1], v[12:13], off
	s_waitcnt_vscnt null, 0x0
	global_atomic_cmpswap_x2 v[7:8], v9, v[10:13], s[2:3] offset:24 glc
	s_waitcnt vmcnt(0)
	v_cmp_ne_u64_e32 vcc_lo, v[7:8], v[12:13]
	s_and_b32 exec_lo, exec_lo, vcc_lo
	s_cbranch_execz .LBB6_603
; %bb.601:
	s_mov_b32 s6, 0
.LBB6_602:                              ; =>This Inner Loop Header: Depth=1
	v_mov_b32_e32 v5, s0
	v_mov_b32_e32 v6, s1
	s_sleep 1
	global_store_dwordx2 v[0:1], v[7:8], off
	s_waitcnt_vscnt null, 0x0
	global_atomic_cmpswap_x2 v[5:6], v9, v[5:8], s[2:3] offset:24 glc
	s_waitcnt vmcnt(0)
	v_cmp_eq_u64_e32 vcc_lo, v[5:6], v[7:8]
	v_mov_b32_e32 v8, v6
	v_mov_b32_e32 v7, v5
	s_or_b32 s6, vcc_lo, s6
	s_andn2_b32 exec_lo, exec_lo, s6
	s_cbranch_execnz .LBB6_602
.LBB6_603:
	s_or_b32 exec_lo, exec_lo, s8
	v_readfirstlane_b32 s0, v31
	v_mov_b32_e32 v0, 0
	v_mov_b32_e32 v1, 0
	v_cmp_eq_u32_e64 s0, s0, v31
	s_and_saveexec_b32 s1, s0
	s_cbranch_execz .LBB6_609
; %bb.604:
	v_mov_b32_e32 v5, 0
	s_mov_b32 s6, exec_lo
	global_load_dwordx2 v[8:9], v5, s[2:3] offset:24 glc dlc
	s_waitcnt vmcnt(0)
	buffer_gl1_inv
	buffer_gl0_inv
	s_clause 0x1
	global_load_dwordx2 v[0:1], v5, s[2:3] offset:40
	global_load_dwordx2 v[6:7], v5, s[2:3]
	s_waitcnt vmcnt(1)
	v_and_b32_e32 v1, v1, v9
	v_and_b32_e32 v0, v0, v8
	v_mul_lo_u32 v1, v1, 24
	v_mul_hi_u32 v10, v0, 24
	v_mul_lo_u32 v0, v0, 24
	v_add_nc_u32_e32 v1, v10, v1
	s_waitcnt vmcnt(0)
	v_add_co_u32 v0, vcc_lo, v6, v0
	v_add_co_ci_u32_e64 v1, null, v7, v1, vcc_lo
	global_load_dwordx2 v[6:7], v[0:1], off glc dlc
	s_waitcnt vmcnt(0)
	global_atomic_cmpswap_x2 v[0:1], v5, v[6:9], s[2:3] offset:24 glc
	s_waitcnt vmcnt(0)
	buffer_gl1_inv
	buffer_gl0_inv
	v_cmpx_ne_u64_e64 v[0:1], v[8:9]
	s_cbranch_execz .LBB6_608
; %bb.605:
	s_mov_b32 s7, 0
	.p2align	6
.LBB6_606:                              ; =>This Inner Loop Header: Depth=1
	s_sleep 1
	s_clause 0x1
	global_load_dwordx2 v[6:7], v5, s[2:3] offset:40
	global_load_dwordx2 v[10:11], v5, s[2:3]
	v_mov_b32_e32 v9, v1
	v_mov_b32_e32 v8, v0
	s_waitcnt vmcnt(1)
	v_and_b32_e32 v0, v6, v8
	v_and_b32_e32 v6, v7, v9
	s_waitcnt vmcnt(0)
	v_mad_u64_u32 v[0:1], null, v0, 24, v[10:11]
	v_mad_u64_u32 v[6:7], null, v6, 24, v[1:2]
	v_mov_b32_e32 v1, v6
	global_load_dwordx2 v[6:7], v[0:1], off glc dlc
	s_waitcnt vmcnt(0)
	global_atomic_cmpswap_x2 v[0:1], v5, v[6:9], s[2:3] offset:24 glc
	s_waitcnt vmcnt(0)
	buffer_gl1_inv
	buffer_gl0_inv
	v_cmp_eq_u64_e32 vcc_lo, v[0:1], v[8:9]
	s_or_b32 s7, vcc_lo, s7
	s_andn2_b32 exec_lo, exec_lo, s7
	s_cbranch_execnz .LBB6_606
; %bb.607:
	s_or_b32 exec_lo, exec_lo, s7
.LBB6_608:
	s_or_b32 exec_lo, exec_lo, s6
.LBB6_609:
	s_or_b32 exec_lo, exec_lo, s1
	v_mov_b32_e32 v6, 0
	v_readfirstlane_b32 s7, v1
	v_readfirstlane_b32 s6, v0
	s_mov_b32 s1, exec_lo
	s_clause 0x1
	global_load_dwordx2 v[11:12], v6, s[2:3] offset:40
	global_load_dwordx4 v[7:10], v6, s[2:3]
	s_waitcnt vmcnt(1)
	v_readfirstlane_b32 s8, v11
	v_readfirstlane_b32 s9, v12
	s_and_b64 s[8:9], s[8:9], s[6:7]
	s_mul_i32 s10, s9, 24
	s_mul_hi_u32 s11, s8, 24
	s_mul_i32 s12, s8, 24
	s_add_i32 s11, s11, s10
	s_waitcnt vmcnt(0)
	v_add_co_u32 v0, vcc_lo, v7, s12
	v_add_co_ci_u32_e64 v1, null, s11, v8, vcc_lo
	s_and_saveexec_b32 s10, s0
	s_cbranch_execz .LBB6_611
; %bb.610:
	v_mov_b32_e32 v5, s1
	v_mov_b32_e32 v12, v6
	;; [unrolled: 1-line block ×5, first 2 shown]
	global_store_dwordx4 v[0:1], v[11:14], off offset:8
.LBB6_611:
	s_or_b32 exec_lo, exec_lo, s10
	s_lshl_b64 s[8:9], s[8:9], 12
	v_lshrrev_b32_e32 v5, 5, v26
	v_add_co_u32 v9, vcc_lo, v9, s8
	v_add_co_ci_u32_e64 v11, null, s9, v10, vcc_lo
	s_mov_b32 s8, 0
	v_add_co_u32 v10, vcc_lo, v9, v30
	s_mov_b32 s11, s8
	s_mov_b32 s9, s8
	;; [unrolled: 1-line block ×3, first 2 shown]
	v_and_or_b32 v3, 0xffffff1f, v3, 32
	v_readfirstlane_b32 s12, v9
	v_readfirstlane_b32 s13, v11
	v_mov_b32_e32 v15, s11
	v_add_co_ci_u32_e64 v11, null, 0, v11, vcc_lo
	v_mov_b32_e32 v14, s10
	v_mov_b32_e32 v13, s9
	;; [unrolled: 1-line block ×3, first 2 shown]
	global_store_dwordx4 v30, v[3:6], s[12:13]
	global_store_dwordx4 v30, v[12:15], s[12:13] offset:16
	global_store_dwordx4 v30, v[12:15], s[12:13] offset:32
	;; [unrolled: 1-line block ×3, first 2 shown]
	s_and_saveexec_b32 s1, s0
	s_cbranch_execz .LBB6_619
; %bb.612:
	v_mov_b32_e32 v12, 0
	v_mov_b32_e32 v13, s6
	;; [unrolled: 1-line block ×3, first 2 shown]
	s_clause 0x1
	global_load_dwordx2 v[15:16], v12, s[2:3] offset:32 glc dlc
	global_load_dwordx2 v[3:4], v12, s[2:3] offset:40
	s_waitcnt vmcnt(0)
	v_readfirstlane_b32 s8, v3
	v_readfirstlane_b32 s9, v4
	s_and_b64 s[8:9], s[8:9], s[6:7]
	s_mul_i32 s9, s9, 24
	s_mul_hi_u32 s10, s8, 24
	s_mul_i32 s8, s8, 24
	s_add_i32 s10, s10, s9
	v_add_co_u32 v3, vcc_lo, v7, s8
	v_add_co_ci_u32_e64 v4, null, s10, v8, vcc_lo
	s_mov_b32 s8, exec_lo
	global_store_dwordx2 v[3:4], v[15:16], off
	s_waitcnt_vscnt null, 0x0
	global_atomic_cmpswap_x2 v[8:9], v12, v[13:16], s[2:3] offset:32 glc
	s_waitcnt vmcnt(0)
	v_cmpx_ne_u64_e64 v[8:9], v[15:16]
	s_cbranch_execz .LBB6_615
; %bb.613:
	s_mov_b32 s9, 0
.LBB6_614:                              ; =>This Inner Loop Header: Depth=1
	v_mov_b32_e32 v6, s6
	v_mov_b32_e32 v7, s7
	s_sleep 1
	global_store_dwordx2 v[3:4], v[8:9], off
	s_waitcnt_vscnt null, 0x0
	global_atomic_cmpswap_x2 v[6:7], v12, v[6:9], s[2:3] offset:32 glc
	s_waitcnt vmcnt(0)
	v_cmp_eq_u64_e32 vcc_lo, v[6:7], v[8:9]
	v_mov_b32_e32 v9, v7
	v_mov_b32_e32 v8, v6
	s_or_b32 s9, vcc_lo, s9
	s_andn2_b32 exec_lo, exec_lo, s9
	s_cbranch_execnz .LBB6_614
.LBB6_615:
	s_or_b32 exec_lo, exec_lo, s8
	v_mov_b32_e32 v7, 0
	s_mov_b32 s9, exec_lo
	s_mov_b32 s8, exec_lo
	v_mbcnt_lo_u32_b32 v6, s9, 0
	global_load_dwordx2 v[3:4], v7, s[2:3] offset:16
	v_cmpx_eq_u32_e32 0, v6
	s_cbranch_execz .LBB6_617
; %bb.616:
	s_bcnt1_i32_b32 s9, s9
	v_mov_b32_e32 v6, s9
	s_waitcnt vmcnt(0)
	global_atomic_add_x2 v[3:4], v[6:7], off offset:8
.LBB6_617:
	s_or_b32 exec_lo, exec_lo, s8
	s_waitcnt vmcnt(0)
	global_load_dwordx2 v[6:7], v[3:4], off offset:16
	s_waitcnt vmcnt(0)
	v_cmp_eq_u64_e32 vcc_lo, 0, v[6:7]
	s_cbranch_vccnz .LBB6_619
; %bb.618:
	global_load_dword v3, v[3:4], off offset:24
	v_mov_b32_e32 v4, 0
	s_waitcnt vmcnt(0)
	v_readfirstlane_b32 s8, v3
	s_waitcnt_vscnt null, 0x0
	global_store_dwordx2 v[6:7], v[3:4], off
	s_and_b32 m0, s8, 0x7fffff
	s_sendmsg sendmsg(MSG_INTERRUPT)
.LBB6_619:
	s_or_b32 exec_lo, exec_lo, s1
	s_branch .LBB6_623
	.p2align	6
.LBB6_620:                              ;   in Loop: Header=BB6_623 Depth=1
	s_or_b32 exec_lo, exec_lo, s1
	v_readfirstlane_b32 s1, v3
	s_cmp_eq_u32 s1, 0
	s_cbranch_scc1 .LBB6_622
; %bb.621:                              ;   in Loop: Header=BB6_623 Depth=1
	s_sleep 1
	s_cbranch_execnz .LBB6_623
	s_branch .LBB6_625
	.p2align	6
.LBB6_622:
	s_branch .LBB6_625
.LBB6_623:                              ; =>This Inner Loop Header: Depth=1
	v_mov_b32_e32 v3, 1
	s_and_saveexec_b32 s1, s0
	s_cbranch_execz .LBB6_620
; %bb.624:                              ;   in Loop: Header=BB6_623 Depth=1
	global_load_dword v3, v[0:1], off offset:20 glc dlc
	s_waitcnt vmcnt(0)
	buffer_gl1_inv
	buffer_gl0_inv
	v_and_b32_e32 v3, 1, v3
	s_branch .LBB6_620
.LBB6_625:
	global_load_dwordx2 v[6:7], v[10:11], off
	s_and_saveexec_b32 s8, s0
	s_cbranch_execz .LBB6_629
; %bb.626:
	v_mov_b32_e32 v3, 0
	s_clause 0x2
	global_load_dwordx2 v[0:1], v3, s[2:3] offset:40
	global_load_dwordx2 v[12:13], v3, s[2:3] offset:24 glc dlc
	global_load_dwordx2 v[8:9], v3, s[2:3]
	s_waitcnt vmcnt(2)
	v_readfirstlane_b32 s10, v0
	v_readfirstlane_b32 s11, v1
	s_add_u32 s9, s10, 1
	s_addc_u32 s12, s11, 0
	s_add_u32 s0, s9, s6
	s_addc_u32 s1, s12, s7
	s_cmp_eq_u64 s[0:1], 0
	s_cselect_b32 s1, s12, s1
	s_cselect_b32 s0, s9, s0
	v_mov_b32_e32 v11, s1
	s_and_b64 s[6:7], s[0:1], s[10:11]
	v_mov_b32_e32 v10, s0
	s_mul_i32 s7, s7, 24
	s_mul_hi_u32 s9, s6, 24
	s_mul_i32 s6, s6, 24
	s_add_i32 s9, s9, s7
	s_waitcnt vmcnt(0)
	v_add_co_u32 v0, vcc_lo, v8, s6
	v_add_co_ci_u32_e64 v1, null, s9, v9, vcc_lo
	global_store_dwordx2 v[0:1], v[12:13], off
	s_waitcnt_vscnt null, 0x0
	global_atomic_cmpswap_x2 v[10:11], v3, v[10:13], s[2:3] offset:24 glc
	s_waitcnt vmcnt(0)
	v_cmp_ne_u64_e32 vcc_lo, v[10:11], v[12:13]
	s_and_b32 exec_lo, exec_lo, vcc_lo
	s_cbranch_execz .LBB6_629
; %bb.627:
	s_mov_b32 s6, 0
.LBB6_628:                              ; =>This Inner Loop Header: Depth=1
	v_mov_b32_e32 v8, s0
	v_mov_b32_e32 v9, s1
	s_sleep 1
	global_store_dwordx2 v[0:1], v[10:11], off
	s_waitcnt_vscnt null, 0x0
	global_atomic_cmpswap_x2 v[8:9], v3, v[8:11], s[2:3] offset:24 glc
	s_waitcnt vmcnt(0)
	v_cmp_eq_u64_e32 vcc_lo, v[8:9], v[10:11]
	v_mov_b32_e32 v11, v9
	v_mov_b32_e32 v10, v8
	s_or_b32 s6, vcc_lo, s6
	s_andn2_b32 exec_lo, exec_lo, s6
	s_cbranch_execnz .LBB6_628
.LBB6_629:
	s_or_b32 exec_lo, exec_lo, s8
	v_readfirstlane_b32 s0, v31
	v_mov_b32_e32 v0, 0
	v_mov_b32_e32 v1, 0
	v_cmp_eq_u32_e64 s0, s0, v31
	s_and_saveexec_b32 s1, s0
	s_cbranch_execz .LBB6_635
; %bb.630:
	v_mov_b32_e32 v3, 0
	s_mov_b32 s6, exec_lo
	global_load_dwordx2 v[10:11], v3, s[2:3] offset:24 glc dlc
	s_waitcnt vmcnt(0)
	buffer_gl1_inv
	buffer_gl0_inv
	s_clause 0x1
	global_load_dwordx2 v[0:1], v3, s[2:3] offset:40
	global_load_dwordx2 v[8:9], v3, s[2:3]
	s_waitcnt vmcnt(1)
	v_and_b32_e32 v1, v1, v11
	v_and_b32_e32 v0, v0, v10
	v_mul_lo_u32 v1, v1, 24
	v_mul_hi_u32 v4, v0, 24
	v_mul_lo_u32 v0, v0, 24
	v_add_nc_u32_e32 v1, v4, v1
	s_waitcnt vmcnt(0)
	v_add_co_u32 v0, vcc_lo, v8, v0
	v_add_co_ci_u32_e64 v1, null, v9, v1, vcc_lo
	global_load_dwordx2 v[8:9], v[0:1], off glc dlc
	s_waitcnt vmcnt(0)
	global_atomic_cmpswap_x2 v[0:1], v3, v[8:11], s[2:3] offset:24 glc
	s_waitcnt vmcnt(0)
	buffer_gl1_inv
	buffer_gl0_inv
	v_cmpx_ne_u64_e64 v[0:1], v[10:11]
	s_cbranch_execz .LBB6_634
; %bb.631:
	s_mov_b32 s7, 0
	.p2align	6
.LBB6_632:                              ; =>This Inner Loop Header: Depth=1
	s_sleep 1
	s_clause 0x1
	global_load_dwordx2 v[8:9], v3, s[2:3] offset:40
	global_load_dwordx2 v[12:13], v3, s[2:3]
	v_mov_b32_e32 v11, v1
	v_mov_b32_e32 v10, v0
	s_waitcnt vmcnt(1)
	v_and_b32_e32 v0, v8, v10
	v_and_b32_e32 v4, v9, v11
	s_waitcnt vmcnt(0)
	v_mad_u64_u32 v[0:1], null, v0, 24, v[12:13]
	v_mad_u64_u32 v[8:9], null, v4, 24, v[1:2]
	v_mov_b32_e32 v1, v8
	global_load_dwordx2 v[8:9], v[0:1], off glc dlc
	s_waitcnt vmcnt(0)
	global_atomic_cmpswap_x2 v[0:1], v3, v[8:11], s[2:3] offset:24 glc
	s_waitcnt vmcnt(0)
	buffer_gl1_inv
	buffer_gl0_inv
	v_cmp_eq_u64_e32 vcc_lo, v[0:1], v[10:11]
	s_or_b32 s7, vcc_lo, s7
	s_andn2_b32 exec_lo, exec_lo, s7
	s_cbranch_execnz .LBB6_632
; %bb.633:
	s_or_b32 exec_lo, exec_lo, s7
.LBB6_634:
	s_or_b32 exec_lo, exec_lo, s6
.LBB6_635:
	s_or_b32 exec_lo, exec_lo, s1
	v_mov_b32_e32 v9, 0
	v_readfirstlane_b32 s7, v1
	v_readfirstlane_b32 s6, v0
	s_mov_b32 s1, exec_lo
	s_clause 0x1
	global_load_dwordx2 v[3:4], v9, s[2:3] offset:40
	global_load_dwordx4 v[10:13], v9, s[2:3]
	s_waitcnt vmcnt(1)
	v_readfirstlane_b32 s8, v3
	v_readfirstlane_b32 s9, v4
	s_and_b64 s[8:9], s[8:9], s[6:7]
	s_mul_i32 s10, s9, 24
	s_mul_hi_u32 s11, s8, 24
	s_mul_i32 s12, s8, 24
	s_add_i32 s11, s11, s10
	s_waitcnt vmcnt(0)
	v_add_co_u32 v0, vcc_lo, v10, s12
	v_add_co_ci_u32_e64 v1, null, s11, v11, vcc_lo
	s_and_saveexec_b32 s10, s0
	s_cbranch_execz .LBB6_637
; %bb.636:
	v_mov_b32_e32 v8, s1
	v_mov_b32_e32 v15, v9
	;; [unrolled: 1-line block ×5, first 2 shown]
	global_store_dwordx4 v[0:1], v[14:17], off offset:8
.LBB6_637:
	s_or_b32 exec_lo, exec_lo, s10
	s_lshl_b64 s[8:9], s[8:9], 12
	s_add_i32 s20, s20, 31
	v_add_co_u32 v3, vcc_lo, v12, s8
	v_add_co_ci_u32_e64 v4, null, s9, v13, vcc_lo
	s_mov_b32 s8, 0
	s_lshr_b32 s1, s20, 5
	s_mov_b32 s11, s8
	s_mov_b32 s9, s8
	;; [unrolled: 1-line block ×3, first 2 shown]
	v_and_or_b32 v6, 0xffffff1d, v6, 34
	v_mov_b32_e32 v8, s1
	v_readfirstlane_b32 s12, v3
	v_readfirstlane_b32 s13, v4
	v_mov_b32_e32 v15, s11
	v_mov_b32_e32 v14, s10
	;; [unrolled: 1-line block ×4, first 2 shown]
	global_store_dwordx4 v30, v[6:9], s[12:13]
	global_store_dwordx4 v30, v[12:15], s[12:13] offset:16
	global_store_dwordx4 v30, v[12:15], s[12:13] offset:32
	;; [unrolled: 1-line block ×3, first 2 shown]
	s_and_saveexec_b32 s1, s0
	s_cbranch_execz .LBB6_645
; %bb.638:
	v_mov_b32_e32 v12, 0
	v_mov_b32_e32 v13, s6
	;; [unrolled: 1-line block ×3, first 2 shown]
	s_clause 0x1
	global_load_dwordx2 v[15:16], v12, s[2:3] offset:32 glc dlc
	global_load_dwordx2 v[3:4], v12, s[2:3] offset:40
	s_waitcnt vmcnt(0)
	v_readfirstlane_b32 s8, v3
	v_readfirstlane_b32 s9, v4
	s_and_b64 s[8:9], s[8:9], s[6:7]
	s_mul_i32 s9, s9, 24
	s_mul_hi_u32 s10, s8, 24
	s_mul_i32 s8, s8, 24
	s_add_i32 s10, s10, s9
	v_add_co_u32 v3, vcc_lo, v10, s8
	v_add_co_ci_u32_e64 v4, null, s10, v11, vcc_lo
	s_mov_b32 s8, exec_lo
	global_store_dwordx2 v[3:4], v[15:16], off
	s_waitcnt_vscnt null, 0x0
	global_atomic_cmpswap_x2 v[8:9], v12, v[13:16], s[2:3] offset:32 glc
	s_waitcnt vmcnt(0)
	v_cmpx_ne_u64_e64 v[8:9], v[15:16]
	s_cbranch_execz .LBB6_641
; %bb.639:
	s_mov_b32 s9, 0
.LBB6_640:                              ; =>This Inner Loop Header: Depth=1
	v_mov_b32_e32 v6, s6
	v_mov_b32_e32 v7, s7
	s_sleep 1
	global_store_dwordx2 v[3:4], v[8:9], off
	s_waitcnt_vscnt null, 0x0
	global_atomic_cmpswap_x2 v[6:7], v12, v[6:9], s[2:3] offset:32 glc
	s_waitcnt vmcnt(0)
	v_cmp_eq_u64_e32 vcc_lo, v[6:7], v[8:9]
	v_mov_b32_e32 v9, v7
	v_mov_b32_e32 v8, v6
	s_or_b32 s9, vcc_lo, s9
	s_andn2_b32 exec_lo, exec_lo, s9
	s_cbranch_execnz .LBB6_640
.LBB6_641:
	s_or_b32 exec_lo, exec_lo, s8
	v_mov_b32_e32 v7, 0
	s_mov_b32 s9, exec_lo
	s_mov_b32 s8, exec_lo
	v_mbcnt_lo_u32_b32 v6, s9, 0
	global_load_dwordx2 v[3:4], v7, s[2:3] offset:16
	v_cmpx_eq_u32_e32 0, v6
	s_cbranch_execz .LBB6_643
; %bb.642:
	s_bcnt1_i32_b32 s9, s9
	v_mov_b32_e32 v6, s9
	s_waitcnt vmcnt(0)
	global_atomic_add_x2 v[3:4], v[6:7], off offset:8
.LBB6_643:
	s_or_b32 exec_lo, exec_lo, s8
	s_waitcnt vmcnt(0)
	global_load_dwordx2 v[6:7], v[3:4], off offset:16
	s_waitcnt vmcnt(0)
	v_cmp_eq_u64_e32 vcc_lo, 0, v[6:7]
	s_cbranch_vccnz .LBB6_645
; %bb.644:
	global_load_dword v3, v[3:4], off offset:24
	v_mov_b32_e32 v4, 0
	s_waitcnt vmcnt(0)
	v_readfirstlane_b32 s8, v3
	s_waitcnt_vscnt null, 0x0
	global_store_dwordx2 v[6:7], v[3:4], off
	s_and_b32 m0, s8, 0x7fffff
	s_sendmsg sendmsg(MSG_INTERRUPT)
.LBB6_645:
	s_or_b32 exec_lo, exec_lo, s1
	s_branch .LBB6_649
	.p2align	6
.LBB6_646:                              ;   in Loop: Header=BB6_649 Depth=1
	s_or_b32 exec_lo, exec_lo, s1
	v_readfirstlane_b32 s1, v3
	s_cmp_eq_u32 s1, 0
	s_cbranch_scc1 .LBB6_648
; %bb.647:                              ;   in Loop: Header=BB6_649 Depth=1
	s_sleep 1
	s_cbranch_execnz .LBB6_649
	s_branch .LBB6_651
	.p2align	6
.LBB6_648:
	s_branch .LBB6_651
.LBB6_649:                              ; =>This Inner Loop Header: Depth=1
	v_mov_b32_e32 v3, 1
	s_and_saveexec_b32 s1, s0
	s_cbranch_execz .LBB6_646
; %bb.650:                              ;   in Loop: Header=BB6_649 Depth=1
	global_load_dword v3, v[0:1], off offset:20 glc dlc
	s_waitcnt vmcnt(0)
	buffer_gl1_inv
	buffer_gl0_inv
	v_and_b32_e32 v3, 1, v3
	s_branch .LBB6_646
.LBB6_651:
	s_and_saveexec_b32 s8, s0
	s_cbranch_execz .LBB6_655
; %bb.652:
	v_mov_b32_e32 v3, 0
	s_clause 0x2
	global_load_dwordx2 v[0:1], v3, s[2:3] offset:40
	global_load_dwordx2 v[10:11], v3, s[2:3] offset:24 glc dlc
	global_load_dwordx2 v[6:7], v3, s[2:3]
	s_waitcnt vmcnt(2)
	v_readfirstlane_b32 s10, v0
	v_readfirstlane_b32 s11, v1
	s_add_u32 s9, s10, 1
	s_addc_u32 s12, s11, 0
	s_add_u32 s0, s9, s6
	s_addc_u32 s1, s12, s7
	s_cmp_eq_u64 s[0:1], 0
	s_cselect_b32 s1, s12, s1
	s_cselect_b32 s0, s9, s0
	v_mov_b32_e32 v9, s1
	s_and_b64 s[6:7], s[0:1], s[10:11]
	v_mov_b32_e32 v8, s0
	s_mul_i32 s7, s7, 24
	s_mul_hi_u32 s9, s6, 24
	s_mul_i32 s6, s6, 24
	s_add_i32 s9, s9, s7
	s_waitcnt vmcnt(0)
	v_add_co_u32 v0, vcc_lo, v6, s6
	v_add_co_ci_u32_e64 v1, null, s9, v7, vcc_lo
	global_store_dwordx2 v[0:1], v[10:11], off
	s_waitcnt_vscnt null, 0x0
	global_atomic_cmpswap_x2 v[8:9], v3, v[8:11], s[2:3] offset:24 glc
	s_waitcnt vmcnt(0)
	v_cmp_ne_u64_e32 vcc_lo, v[8:9], v[10:11]
	s_and_b32 exec_lo, exec_lo, vcc_lo
	s_cbranch_execz .LBB6_655
; %bb.653:
	s_mov_b32 s6, 0
.LBB6_654:                              ; =>This Inner Loop Header: Depth=1
	v_mov_b32_e32 v6, s0
	v_mov_b32_e32 v7, s1
	s_sleep 1
	global_store_dwordx2 v[0:1], v[8:9], off
	s_waitcnt_vscnt null, 0x0
	global_atomic_cmpswap_x2 v[6:7], v3, v[6:9], s[2:3] offset:24 glc
	s_waitcnt vmcnt(0)
	v_cmp_eq_u64_e32 vcc_lo, v[6:7], v[8:9]
	v_mov_b32_e32 v9, v7
	v_mov_b32_e32 v8, v6
	s_or_b32 s6, vcc_lo, s6
	s_andn2_b32 exec_lo, exec_lo, s6
	s_cbranch_execnz .LBB6_654
.LBB6_655:
	s_or_b32 exec_lo, exec_lo, s8
	s_load_dwordx2 s[0:1], s[4:5], 0x0
	v_lshlrev_b32_e32 v0, 2, v5
	s_waitcnt lgkmcnt(0)
	global_store_dword v0, v2, s[0:1]
	s_endpgm
	.section	.rodata,"a",@progbits
	.p2align	6, 0x0
	.amdhsa_kernel _Z32kernel_cg_group_partition_staticILj32EEvPibS0_
		.amdhsa_group_segment_fixed_size 0
		.amdhsa_private_segment_fixed_size 0
		.amdhsa_kernarg_size 280
		.amdhsa_user_sgpr_count 6
		.amdhsa_user_sgpr_private_segment_buffer 1
		.amdhsa_user_sgpr_dispatch_ptr 0
		.amdhsa_user_sgpr_queue_ptr 0
		.amdhsa_user_sgpr_kernarg_segment_ptr 1
		.amdhsa_user_sgpr_dispatch_id 0
		.amdhsa_user_sgpr_flat_scratch_init 0
		.amdhsa_user_sgpr_private_segment_size 0
		.amdhsa_wavefront_size32 1
		.amdhsa_uses_dynamic_stack 0
		.amdhsa_system_sgpr_private_segment_wavefront_offset 0
		.amdhsa_system_sgpr_workgroup_id_x 1
		.amdhsa_system_sgpr_workgroup_id_y 0
		.amdhsa_system_sgpr_workgroup_id_z 0
		.amdhsa_system_sgpr_workgroup_info 0
		.amdhsa_system_vgpr_workitem_id 2
		.amdhsa_next_free_vgpr 36
		.amdhsa_next_free_sgpr 28
		.amdhsa_reserve_vcc 1
		.amdhsa_reserve_flat_scratch 0
		.amdhsa_float_round_mode_32 0
		.amdhsa_float_round_mode_16_64 0
		.amdhsa_float_denorm_mode_32 3
		.amdhsa_float_denorm_mode_16_64 3
		.amdhsa_dx10_clamp 1
		.amdhsa_ieee_mode 1
		.amdhsa_fp16_overflow 0
		.amdhsa_workgroup_processor_mode 1
		.amdhsa_memory_ordered 1
		.amdhsa_forward_progress 1
		.amdhsa_shared_vgpr_count 0
		.amdhsa_exception_fp_ieee_invalid_op 0
		.amdhsa_exception_fp_denorm_src 0
		.amdhsa_exception_fp_ieee_div_zero 0
		.amdhsa_exception_fp_ieee_overflow 0
		.amdhsa_exception_fp_ieee_underflow 0
		.amdhsa_exception_fp_ieee_inexact 0
		.amdhsa_exception_int_div_zero 0
	.end_amdhsa_kernel
	.section	.text._Z32kernel_cg_group_partition_staticILj32EEvPibS0_,"axG",@progbits,_Z32kernel_cg_group_partition_staticILj32EEvPibS0_,comdat
.Lfunc_end6:
	.size	_Z32kernel_cg_group_partition_staticILj32EEvPibS0_, .Lfunc_end6-_Z32kernel_cg_group_partition_staticILj32EEvPibS0_
                                        ; -- End function
	.set _Z32kernel_cg_group_partition_staticILj32EEvPibS0_.num_vgpr, 36
	.set _Z32kernel_cg_group_partition_staticILj32EEvPibS0_.num_agpr, 0
	.set _Z32kernel_cg_group_partition_staticILj32EEvPibS0_.numbered_sgpr, 28
	.set _Z32kernel_cg_group_partition_staticILj32EEvPibS0_.num_named_barrier, 0
	.set _Z32kernel_cg_group_partition_staticILj32EEvPibS0_.private_seg_size, 0
	.set _Z32kernel_cg_group_partition_staticILj32EEvPibS0_.uses_vcc, 1
	.set _Z32kernel_cg_group_partition_staticILj32EEvPibS0_.uses_flat_scratch, 0
	.set _Z32kernel_cg_group_partition_staticILj32EEvPibS0_.has_dyn_sized_stack, 0
	.set _Z32kernel_cg_group_partition_staticILj32EEvPibS0_.has_recursion, 0
	.set _Z32kernel_cg_group_partition_staticILj32EEvPibS0_.has_indirect_call, 0
	.section	.AMDGPU.csdata,"",@progbits
; Kernel info:
; codeLenInByte = 28344
; TotalNumSgprs: 30
; NumVgprs: 36
; ScratchSize: 0
; MemoryBound: 0
; FloatMode: 240
; IeeeMode: 1
; LDSByteSize: 0 bytes/workgroup (compile time only)
; SGPRBlocks: 0
; VGPRBlocks: 4
; NumSGPRsForWavesPerEU: 30
; NumVGPRsForWavesPerEU: 36
; Occupancy: 16
; WaveLimiterHint : 1
; COMPUTE_PGM_RSRC2:SCRATCH_EN: 0
; COMPUTE_PGM_RSRC2:USER_SGPR: 6
; COMPUTE_PGM_RSRC2:TRAP_HANDLER: 0
; COMPUTE_PGM_RSRC2:TGID_X_EN: 1
; COMPUTE_PGM_RSRC2:TGID_Y_EN: 0
; COMPUTE_PGM_RSRC2:TGID_Z_EN: 0
; COMPUTE_PGM_RSRC2:TIDIG_COMP_CNT: 2
	.text
	.p2alignl 6, 3214868480
	.fill 48, 4, 3214868480
	.section	.AMDGPU.gpr_maximums,"",@progbits
	.set amdgpu.max_num_vgpr, 0
	.set amdgpu.max_num_agpr, 0
	.set amdgpu.max_num_sgpr, 0
	.text
	.type	.str,@object                    ; @.str
	.section	.rodata.str1.1,"aMS",@progbits,1
.str:
	.asciz	"\n\n\n Sum of all ranks 0..%d in threadBlockCooperativeGroup is %d\n\n"
	.size	.str, 66

	.type	.str.1,@object                  ; @.str.1
.str.1:
	.asciz	" Creating %d groups, of tile size %d threads:\n\n"
	.size	.str.1, 48

	.type	.str.2,@object                  ; @.str.2
.str.2:
	.asciz	"   Sum of all ranks 0..%d in this tiledPartition group is %d. Corresponding parent thread rank: %d\n"
	.size	.str.2, 100

	.type	.str.3,@object                  ; @.str.3
.str.3:
	.asciz	"Outer tile %d (size=%u), inner subtile %d (size=%u) subtotal = %d\n"
	.size	.str.3, 67

	.type	.str.8,@object                  ; @.str.8
.str.8:
	.asciz	" Sum of all ranks 0..%d in threadBlockCooperativeGroup is %d (expected %d)\n\n"
	.size	.str.8, 77

	.type	.str.9,@object                  ; @.str.9
.str.9:
	.asciz	"   Sum of all ranks 0..%d in this tiledPartition group is %d. Corresponding parent thread rank: via meta_group_rank : %d and the total number of groups created when partitioned : %d\n"
	.size	.str.9, 183

	.type	__hip_cuid_a0b2867546771237,@object ; @__hip_cuid_a0b2867546771237
	.section	.bss,"aw",@nobits
	.globl	__hip_cuid_a0b2867546771237
__hip_cuid_a0b2867546771237:
	.byte	0                               ; 0x0
	.size	__hip_cuid_a0b2867546771237, 1

	.ident	"AMD clang version 22.0.0git (https://github.com/RadeonOpenCompute/llvm-project roc-7.2.4 26084 f58b06dce1f9c15707c5f808fd002e18c2accf7e)"
	.section	".note.GNU-stack","",@progbits
	.addrsig
	.addrsig_sym __hip_cuid_a0b2867546771237
	.amdgpu_metadata
---
amdhsa.kernels:
  - .args:
      - .offset:         0
        .size:           4
        .value_kind:     by_value
      - .address_space:  global
        .offset:         8
        .size:           8
        .value_kind:     global_buffer
      - .offset:         16
        .size:           1
        .value_kind:     by_value
      - .address_space:  global
        .offset:         24
        .size:           8
        .value_kind:     global_buffer
      - .offset:         32
        .size:           4
        .value_kind:     hidden_block_count_x
      - .offset:         36
        .size:           4
        .value_kind:     hidden_block_count_y
      - .offset:         40
        .size:           4
        .value_kind:     hidden_block_count_z
      - .offset:         44
        .size:           2
        .value_kind:     hidden_group_size_x
      - .offset:         46
        .size:           2
        .value_kind:     hidden_group_size_y
      - .offset:         48
        .size:           2
        .value_kind:     hidden_group_size_z
      - .offset:         50
        .size:           2
        .value_kind:     hidden_remainder_x
      - .offset:         52
        .size:           2
        .value_kind:     hidden_remainder_y
      - .offset:         54
        .size:           2
        .value_kind:     hidden_remainder_z
      - .offset:         72
        .size:           8
        .value_kind:     hidden_global_offset_x
      - .offset:         80
        .size:           8
        .value_kind:     hidden_global_offset_y
      - .offset:         88
        .size:           8
        .value_kind:     hidden_global_offset_z
      - .offset:         96
        .size:           2
        .value_kind:     hidden_grid_dims
      - .offset:         112
        .size:           8
        .value_kind:     hidden_hostcall_buffer
      - .offset:         152
        .size:           4
        .value_kind:     hidden_dynamic_lds_size
    .group_segment_fixed_size: 0
    .kernarg_segment_align: 8
    .kernarg_segment_size: 288
    .language:       OpenCL C
    .language_version:
      - 2
      - 0
    .max_flat_workgroup_size: 1024
    .name:           _Z33kernel_cg_group_partition_dynamicjPibS_
    .private_segment_fixed_size: 0
    .sgpr_count:     30
    .sgpr_spill_count: 0
    .symbol:         _Z33kernel_cg_group_partition_dynamicjPibS_.kd
    .uniform_work_group_size: 1
    .uses_dynamic_stack: false
    .vgpr_count:     38
    .vgpr_spill_count: 0
    .wavefront_size: 32
    .workgroup_processor_mode: 1
  - .args:
      - .offset:         0
        .size:           4
        .value_kind:     by_value
      - .offset:         4
        .size:           4
        .value_kind:     by_value
      - .address_space:  global
        .offset:         8
        .size:           8
        .value_kind:     global_buffer
      - .offset:         16
        .size:           1
        .value_kind:     by_value
      - .address_space:  global
        .offset:         24
        .size:           8
        .value_kind:     global_buffer
      - .offset:         32
        .size:           4
        .value_kind:     hidden_block_count_x
      - .offset:         36
        .size:           4
        .value_kind:     hidden_block_count_y
      - .offset:         40
        .size:           4
        .value_kind:     hidden_block_count_z
      - .offset:         44
        .size:           2
        .value_kind:     hidden_group_size_x
      - .offset:         46
        .size:           2
        .value_kind:     hidden_group_size_y
      - .offset:         48
        .size:           2
        .value_kind:     hidden_group_size_z
      - .offset:         50
        .size:           2
        .value_kind:     hidden_remainder_x
      - .offset:         52
        .size:           2
        .value_kind:     hidden_remainder_y
      - .offset:         54
        .size:           2
        .value_kind:     hidden_remainder_z
      - .offset:         72
        .size:           8
        .value_kind:     hidden_global_offset_x
      - .offset:         80
        .size:           8
        .value_kind:     hidden_global_offset_y
      - .offset:         88
        .size:           8
        .value_kind:     hidden_global_offset_z
      - .offset:         96
        .size:           2
        .value_kind:     hidden_grid_dims
      - .offset:         112
        .size:           8
        .value_kind:     hidden_hostcall_buffer
      - .offset:         152
        .size:           4
        .value_kind:     hidden_dynamic_lds_size
    .group_segment_fixed_size: 0
    .kernarg_segment_align: 8
    .kernarg_segment_size: 288
    .language:       OpenCL C
    .language_version:
      - 2
      - 0
    .max_flat_workgroup_size: 1024
    .name:           _Z32kernel_cg_group_partition_nestedjjPibS_
    .private_segment_fixed_size: 0
    .sgpr_count:     26
    .sgpr_spill_count: 0
    .symbol:         _Z32kernel_cg_group_partition_nestedjjPibS_.kd
    .uniform_work_group_size: 1
    .uses_dynamic_stack: false
    .vgpr_count:     36
    .vgpr_spill_count: 0
    .wavefront_size: 32
    .workgroup_processor_mode: 1
  - .args:
      - .address_space:  global
        .offset:         0
        .size:           8
        .value_kind:     global_buffer
      - .offset:         8
        .size:           1
        .value_kind:     by_value
      - .address_space:  global
        .offset:         16
        .size:           8
        .value_kind:     global_buffer
      - .offset:         24
        .size:           4
        .value_kind:     hidden_block_count_x
      - .offset:         28
        .size:           4
        .value_kind:     hidden_block_count_y
      - .offset:         32
        .size:           4
        .value_kind:     hidden_block_count_z
      - .offset:         36
        .size:           2
        .value_kind:     hidden_group_size_x
      - .offset:         38
        .size:           2
        .value_kind:     hidden_group_size_y
      - .offset:         40
        .size:           2
        .value_kind:     hidden_group_size_z
      - .offset:         42
        .size:           2
        .value_kind:     hidden_remainder_x
      - .offset:         44
        .size:           2
        .value_kind:     hidden_remainder_y
      - .offset:         46
        .size:           2
        .value_kind:     hidden_remainder_z
      - .offset:         64
        .size:           8
        .value_kind:     hidden_global_offset_x
      - .offset:         72
        .size:           8
        .value_kind:     hidden_global_offset_y
      - .offset:         80
        .size:           8
        .value_kind:     hidden_global_offset_z
      - .offset:         88
        .size:           2
        .value_kind:     hidden_grid_dims
      - .offset:         104
        .size:           8
        .value_kind:     hidden_hostcall_buffer
      - .offset:         144
        .size:           4
        .value_kind:     hidden_dynamic_lds_size
    .group_segment_fixed_size: 0
    .kernarg_segment_align: 8
    .kernarg_segment_size: 280
    .language:       OpenCL C
    .language_version:
      - 2
      - 0
    .max_flat_workgroup_size: 1024
    .name:           _Z32kernel_cg_group_partition_staticILj2EEvPibS0_
    .private_segment_fixed_size: 0
    .sgpr_count:     30
    .sgpr_spill_count: 0
    .symbol:         _Z32kernel_cg_group_partition_staticILj2EEvPibS0_.kd
    .uniform_work_group_size: 1
    .uses_dynamic_stack: false
    .vgpr_count:     35
    .vgpr_spill_count: 0
    .wavefront_size: 32
    .workgroup_processor_mode: 1
  - .args:
      - .address_space:  global
        .offset:         0
        .size:           8
        .value_kind:     global_buffer
      - .offset:         8
        .size:           1
        .value_kind:     by_value
      - .address_space:  global
        .offset:         16
        .size:           8
        .value_kind:     global_buffer
      - .offset:         24
        .size:           4
        .value_kind:     hidden_block_count_x
      - .offset:         28
        .size:           4
        .value_kind:     hidden_block_count_y
      - .offset:         32
        .size:           4
        .value_kind:     hidden_block_count_z
      - .offset:         36
        .size:           2
        .value_kind:     hidden_group_size_x
      - .offset:         38
        .size:           2
        .value_kind:     hidden_group_size_y
      - .offset:         40
        .size:           2
        .value_kind:     hidden_group_size_z
      - .offset:         42
        .size:           2
        .value_kind:     hidden_remainder_x
      - .offset:         44
        .size:           2
        .value_kind:     hidden_remainder_y
      - .offset:         46
        .size:           2
        .value_kind:     hidden_remainder_z
      - .offset:         64
        .size:           8
        .value_kind:     hidden_global_offset_x
      - .offset:         72
        .size:           8
        .value_kind:     hidden_global_offset_y
      - .offset:         80
        .size:           8
        .value_kind:     hidden_global_offset_z
      - .offset:         88
        .size:           2
        .value_kind:     hidden_grid_dims
      - .offset:         104
        .size:           8
        .value_kind:     hidden_hostcall_buffer
      - .offset:         144
        .size:           4
        .value_kind:     hidden_dynamic_lds_size
    .group_segment_fixed_size: 0
    .kernarg_segment_align: 8
    .kernarg_segment_size: 280
    .language:       OpenCL C
    .language_version:
      - 2
      - 0
    .max_flat_workgroup_size: 1024
    .name:           _Z32kernel_cg_group_partition_staticILj4EEvPibS0_
    .private_segment_fixed_size: 0
    .sgpr_count:     30
    .sgpr_spill_count: 0
    .symbol:         _Z32kernel_cg_group_partition_staticILj4EEvPibS0_.kd
    .uniform_work_group_size: 1
    .uses_dynamic_stack: false
    .vgpr_count:     36
    .vgpr_spill_count: 0
    .wavefront_size: 32
    .workgroup_processor_mode: 1
  - .args:
      - .address_space:  global
        .offset:         0
        .size:           8
        .value_kind:     global_buffer
      - .offset:         8
        .size:           1
        .value_kind:     by_value
      - .address_space:  global
        .offset:         16
        .size:           8
        .value_kind:     global_buffer
      - .offset:         24
        .size:           4
        .value_kind:     hidden_block_count_x
      - .offset:         28
        .size:           4
        .value_kind:     hidden_block_count_y
      - .offset:         32
        .size:           4
        .value_kind:     hidden_block_count_z
      - .offset:         36
        .size:           2
        .value_kind:     hidden_group_size_x
      - .offset:         38
        .size:           2
        .value_kind:     hidden_group_size_y
      - .offset:         40
        .size:           2
        .value_kind:     hidden_group_size_z
      - .offset:         42
        .size:           2
        .value_kind:     hidden_remainder_x
      - .offset:         44
        .size:           2
        .value_kind:     hidden_remainder_y
      - .offset:         46
        .size:           2
        .value_kind:     hidden_remainder_z
      - .offset:         64
        .size:           8
        .value_kind:     hidden_global_offset_x
      - .offset:         72
        .size:           8
        .value_kind:     hidden_global_offset_y
      - .offset:         80
        .size:           8
        .value_kind:     hidden_global_offset_z
      - .offset:         88
        .size:           2
        .value_kind:     hidden_grid_dims
      - .offset:         104
        .size:           8
        .value_kind:     hidden_hostcall_buffer
      - .offset:         144
        .size:           4
        .value_kind:     hidden_dynamic_lds_size
    .group_segment_fixed_size: 0
    .kernarg_segment_align: 8
    .kernarg_segment_size: 280
    .language:       OpenCL C
    .language_version:
      - 2
      - 0
    .max_flat_workgroup_size: 1024
    .name:           _Z32kernel_cg_group_partition_staticILj8EEvPibS0_
    .private_segment_fixed_size: 0
    .sgpr_count:     30
    .sgpr_spill_count: 0
    .symbol:         _Z32kernel_cg_group_partition_staticILj8EEvPibS0_.kd
    .uniform_work_group_size: 1
    .uses_dynamic_stack: false
    .vgpr_count:     36
    .vgpr_spill_count: 0
    .wavefront_size: 32
    .workgroup_processor_mode: 1
  - .args:
      - .address_space:  global
        .offset:         0
        .size:           8
        .value_kind:     global_buffer
      - .offset:         8
        .size:           1
        .value_kind:     by_value
      - .address_space:  global
        .offset:         16
        .size:           8
        .value_kind:     global_buffer
      - .offset:         24
        .size:           4
        .value_kind:     hidden_block_count_x
      - .offset:         28
        .size:           4
        .value_kind:     hidden_block_count_y
      - .offset:         32
        .size:           4
        .value_kind:     hidden_block_count_z
      - .offset:         36
        .size:           2
        .value_kind:     hidden_group_size_x
      - .offset:         38
        .size:           2
        .value_kind:     hidden_group_size_y
      - .offset:         40
        .size:           2
        .value_kind:     hidden_group_size_z
      - .offset:         42
        .size:           2
        .value_kind:     hidden_remainder_x
      - .offset:         44
        .size:           2
        .value_kind:     hidden_remainder_y
      - .offset:         46
        .size:           2
        .value_kind:     hidden_remainder_z
      - .offset:         64
        .size:           8
        .value_kind:     hidden_global_offset_x
      - .offset:         72
        .size:           8
        .value_kind:     hidden_global_offset_y
      - .offset:         80
        .size:           8
        .value_kind:     hidden_global_offset_z
      - .offset:         88
        .size:           2
        .value_kind:     hidden_grid_dims
      - .offset:         104
        .size:           8
        .value_kind:     hidden_hostcall_buffer
      - .offset:         144
        .size:           4
        .value_kind:     hidden_dynamic_lds_size
    .group_segment_fixed_size: 0
    .kernarg_segment_align: 8
    .kernarg_segment_size: 280
    .language:       OpenCL C
    .language_version:
      - 2
      - 0
    .max_flat_workgroup_size: 1024
    .name:           _Z32kernel_cg_group_partition_staticILj16EEvPibS0_
    .private_segment_fixed_size: 0
    .sgpr_count:     30
    .sgpr_spill_count: 0
    .symbol:         _Z32kernel_cg_group_partition_staticILj16EEvPibS0_.kd
    .uniform_work_group_size: 1
    .uses_dynamic_stack: false
    .vgpr_count:     36
    .vgpr_spill_count: 0
    .wavefront_size: 32
    .workgroup_processor_mode: 1
  - .args:
      - .address_space:  global
        .offset:         0
        .size:           8
        .value_kind:     global_buffer
      - .offset:         8
        .size:           1
        .value_kind:     by_value
      - .address_space:  global
        .offset:         16
        .size:           8
        .value_kind:     global_buffer
      - .offset:         24
        .size:           4
        .value_kind:     hidden_block_count_x
      - .offset:         28
        .size:           4
        .value_kind:     hidden_block_count_y
      - .offset:         32
        .size:           4
        .value_kind:     hidden_block_count_z
      - .offset:         36
        .size:           2
        .value_kind:     hidden_group_size_x
      - .offset:         38
        .size:           2
        .value_kind:     hidden_group_size_y
      - .offset:         40
        .size:           2
        .value_kind:     hidden_group_size_z
      - .offset:         42
        .size:           2
        .value_kind:     hidden_remainder_x
      - .offset:         44
        .size:           2
        .value_kind:     hidden_remainder_y
      - .offset:         46
        .size:           2
        .value_kind:     hidden_remainder_z
      - .offset:         64
        .size:           8
        .value_kind:     hidden_global_offset_x
      - .offset:         72
        .size:           8
        .value_kind:     hidden_global_offset_y
      - .offset:         80
        .size:           8
        .value_kind:     hidden_global_offset_z
      - .offset:         88
        .size:           2
        .value_kind:     hidden_grid_dims
      - .offset:         104
        .size:           8
        .value_kind:     hidden_hostcall_buffer
      - .offset:         144
        .size:           4
        .value_kind:     hidden_dynamic_lds_size
    .group_segment_fixed_size: 0
    .kernarg_segment_align: 8
    .kernarg_segment_size: 280
    .language:       OpenCL C
    .language_version:
      - 2
      - 0
    .max_flat_workgroup_size: 1024
    .name:           _Z32kernel_cg_group_partition_staticILj32EEvPibS0_
    .private_segment_fixed_size: 0
    .sgpr_count:     30
    .sgpr_spill_count: 0
    .symbol:         _Z32kernel_cg_group_partition_staticILj32EEvPibS0_.kd
    .uniform_work_group_size: 1
    .uses_dynamic_stack: false
    .vgpr_count:     36
    .vgpr_spill_count: 0
    .wavefront_size: 32
    .workgroup_processor_mode: 1
amdhsa.target:   amdgcn-amd-amdhsa--gfx1030
amdhsa.version:
  - 1
  - 2
...

	.end_amdgpu_metadata
